;; amdgpu-corpus repo=ROCm/aiter kind=compiled arch=gfx90a opt=O3
	.text
	.amdgcn_target "amdgcn-amd-amdhsa--gfx90a"
	.amdhsa_code_object_version 6
	.section	.text._ZN7ck_tileL11flush_cacheEv,"axG",@progbits,_ZN7ck_tileL11flush_cacheEv,comdat
	.globl	_ZN7ck_tileL11flush_cacheEv     ; -- Begin function _ZN7ck_tileL11flush_cacheEv
	.p2align	8
	.type	_ZN7ck_tileL11flush_cacheEv,@function
_ZN7ck_tileL11flush_cacheEv:            ; @_ZN7ck_tileL11flush_cacheEv
; %bb.0:
	;;#ASMSTART
	s_icache_inv 
	s_nop 0 
	s_nop 0 
	;; [unrolled: 1-line block ×16, first 2 shown]
	
	;;#ASMEND
	s_endpgm
	.section	.rodata,"a",@progbits
	.p2align	6, 0x0
	.amdhsa_kernel _ZN7ck_tileL11flush_cacheEv
		.amdhsa_group_segment_fixed_size 0
		.amdhsa_private_segment_fixed_size 0
		.amdhsa_kernarg_size 0
		.amdhsa_user_sgpr_count 4
		.amdhsa_user_sgpr_private_segment_buffer 1
		.amdhsa_user_sgpr_dispatch_ptr 0
		.amdhsa_user_sgpr_queue_ptr 0
		.amdhsa_user_sgpr_kernarg_segment_ptr 0
		.amdhsa_user_sgpr_dispatch_id 0
		.amdhsa_user_sgpr_flat_scratch_init 0
		.amdhsa_user_sgpr_kernarg_preload_length 0
		.amdhsa_user_sgpr_kernarg_preload_offset 0
		.amdhsa_user_sgpr_private_segment_size 0
		.amdhsa_uses_dynamic_stack 0
		.amdhsa_system_sgpr_private_segment_wavefront_offset 0
		.amdhsa_system_sgpr_workgroup_id_x 1
		.amdhsa_system_sgpr_workgroup_id_y 0
		.amdhsa_system_sgpr_workgroup_id_z 0
		.amdhsa_system_sgpr_workgroup_info 0
		.amdhsa_system_vgpr_workitem_id 0
		.amdhsa_next_free_vgpr 1
		.amdhsa_next_free_sgpr 0
		.amdhsa_accum_offset 4
		.amdhsa_reserve_vcc 0
		.amdhsa_reserve_flat_scratch 0
		.amdhsa_float_round_mode_32 0
		.amdhsa_float_round_mode_16_64 0
		.amdhsa_float_denorm_mode_32 3
		.amdhsa_float_denorm_mode_16_64 3
		.amdhsa_dx10_clamp 1
		.amdhsa_ieee_mode 1
		.amdhsa_fp16_overflow 0
		.amdhsa_tg_split 0
		.amdhsa_exception_fp_ieee_invalid_op 0
		.amdhsa_exception_fp_denorm_src 0
		.amdhsa_exception_fp_ieee_div_zero 0
		.amdhsa_exception_fp_ieee_overflow 0
		.amdhsa_exception_fp_ieee_underflow 0
		.amdhsa_exception_fp_ieee_inexact 0
		.amdhsa_exception_int_div_zero 0
	.end_amdhsa_kernel
	.section	.text._ZN7ck_tileL11flush_cacheEv,"axG",@progbits,_ZN7ck_tileL11flush_cacheEv,comdat
.Lfunc_end0:
	.size	_ZN7ck_tileL11flush_cacheEv, .Lfunc_end0-_ZN7ck_tileL11flush_cacheEv
                                        ; -- End function
	.section	.AMDGPU.csdata,"",@progbits
; Kernel info:
; codeLenInByte = 140
; NumSgprs: 4
; NumVgprs: 0
; NumAgprs: 0
; TotalNumVgprs: 0
; ScratchSize: 0
; MemoryBound: 0
; FloatMode: 240
; IeeeMode: 1
; LDSByteSize: 0 bytes/workgroup (compile time only)
; SGPRBlocks: 0
; VGPRBlocks: 0
; NumSGPRsForWavesPerEU: 4
; NumVGPRsForWavesPerEU: 1
; AccumOffset: 4
; Occupancy: 8
; WaveLimiterHint : 0
; COMPUTE_PGM_RSRC2:SCRATCH_EN: 0
; COMPUTE_PGM_RSRC2:USER_SGPR: 4
; COMPUTE_PGM_RSRC2:TRAP_HANDLER: 0
; COMPUTE_PGM_RSRC2:TGID_X_EN: 1
; COMPUTE_PGM_RSRC2:TGID_Y_EN: 0
; COMPUTE_PGM_RSRC2:TGID_Z_EN: 0
; COMPUTE_PGM_RSRC2:TIDIG_COMP_CNT: 0
; COMPUTE_PGM_RSRC3_GFX90A:ACCUM_OFFSET: 0
; COMPUTE_PGM_RSRC3_GFX90A:TG_SPLIT: 0
	.section	.text._ZN5aiter22opus_moe_sorting_entryINS_16MoeSortingKernelINS_19MoeSortingProblemExIifLi8ELb1ELb1ELb1ELb1ELi0EEEEENS4_5KargsEEEvT0_,"axG",@progbits,_ZN5aiter22opus_moe_sorting_entryINS_16MoeSortingKernelINS_19MoeSortingProblemExIifLi8ELb1ELb1ELb1ELb1ELi0EEEEENS4_5KargsEEEvT0_,comdat
	.protected	_ZN5aiter22opus_moe_sorting_entryINS_16MoeSortingKernelINS_19MoeSortingProblemExIifLi8ELb1ELb1ELb1ELb1ELi0EEEEENS4_5KargsEEEvT0_ ; -- Begin function _ZN5aiter22opus_moe_sorting_entryINS_16MoeSortingKernelINS_19MoeSortingProblemExIifLi8ELb1ELb1ELb1ELb1ELi0EEEEENS4_5KargsEEEvT0_
	.globl	_ZN5aiter22opus_moe_sorting_entryINS_16MoeSortingKernelINS_19MoeSortingProblemExIifLi8ELb1ELb1ELb1ELb1ELi0EEEEENS4_5KargsEEEvT0_
	.p2align	8
	.type	_ZN5aiter22opus_moe_sorting_entryINS_16MoeSortingKernelINS_19MoeSortingProblemExIifLi8ELb1ELb1ELb1ELb1ELi0EEEEENS4_5KargsEEEvT0_,@function
_ZN5aiter22opus_moe_sorting_entryINS_16MoeSortingKernelINS_19MoeSortingProblemExIifLi8ELb1ELb1ELb1ELb1ELi0EEEEENS4_5KargsEEEvT0_: ; @_ZN5aiter22opus_moe_sorting_entryINS_16MoeSortingKernelINS_19MoeSortingProblemExIifLi8ELb1ELb1ELb1ELb1ELi0EEEEENS4_5KargsEEEvT0_
; %bb.0:
	s_load_dwordx16 s[36:51], s[4:5], 0x0
	s_load_dwordx4 s[20:23], s[4:5], 0x40
	s_load_dwordx4 s[52:55], s[4:5], 0x54
	s_cmp_eq_u32 s6, 0
	s_waitcnt lgkmcnt(0)
	s_load_dword s33, s[42:43], 0x0
	s_cbranch_scc1 .LBB1_7
; %bb.1:
	s_cmp_eq_u64 s[20:21], 0
	s_mov_b64 s[2:3], 0
	s_cbranch_scc1 .LBB1_6
; %bb.2:
	s_waitcnt lgkmcnt(0)
	s_ashr_i32 s0, s33, 31
	s_mul_i32 s7, s54, s53
	s_mul_hi_i32 s1, s54, s53
	s_mul_i32 s0, s7, s0
	s_mul_hi_u32 s8, s7, s33
	s_add_i32 s0, s8, s0
	s_mul_i32 s1, s1, s33
	s_add_i32 s1, s0, s1
	s_mul_i32 s0, s7, s33
	s_ashr_i32 s7, s1, 31
	s_lshr_b32 s8, s7, 28
	s_add_u32 s0, s0, s8
	s_addc_u32 s1, s1, 0
	v_lshl_add_u32 v1, s6, 8, v0
	s_ashr_i64 s[8:9], s[0:1], 4
	v_add_u32_e32 v2, 0xffffff00, v1
	v_mov_b32_e32 v3, 0
	s_mov_b32 s7, 0
	v_cmp_gt_i64_e32 vcc, s[8:9], v[2:3]
	s_and_saveexec_b64 s[10:11], vcc
	s_cbranch_execz .LBB1_5
; %bb.3:
	s_load_dword s0, s[4:5], 0x90
	v_lshlrev_b64 v[4:5], 4, v[2:3]
	v_mov_b32_e32 v1, s21
	v_add_co_u32_e32 v8, vcc, s20, v4
	s_waitcnt lgkmcnt(0)
	s_lshl_b32 s0, s0, 8
	s_add_i32 s6, s0, 0xffffff00
	s_lshl_b64 s[12:13], s[6:7], 4
	v_pk_mov_b32 v[6:7], v[2:3], v[2:3] op_sel:[0,1]
	v_addc_co_u32_e32 v9, vcc, v1, v5, vcc
	s_mov_b64 s[14:15], 0
	v_mov_b32_e32 v2, v3
	v_mov_b32_e32 v4, v3
	;; [unrolled: 1-line block ×5, first 2 shown]
.LBB1_4:                                ; =>This Inner Loop Header: Depth=1
	v_add_co_u32_e32 v6, vcc, s6, v6
	v_addc_co_u32_e32 v7, vcc, v7, v1, vcc
	global_store_dwordx4 v[8:9], v[2:5], off
	v_add_co_u32_e32 v8, vcc, s12, v8
	v_cmp_le_i64_e64 s[0:1], s[8:9], v[6:7]
	s_or_b64 s[14:15], s[0:1], s[14:15]
	v_addc_co_u32_e32 v9, vcc, v9, v10, vcc
	s_andn2_b64 exec, exec, s[14:15]
	s_cbranch_execnz .LBB1_4
.LBB1_5:
	s_or_b64 exec, exec, s[10:11]
.LBB1_6:
	s_andn2_b64 vcc, exec, s[2:3]
	s_cbranch_vccz .LBB1_8
	s_branch .LBB1_96
.LBB1_7:
.LBB1_8:
	s_load_dwordx8 s[24:31], s[4:5], 0x64
	s_load_dwordx2 s[0:1], s[4:5], 0x84
	v_lshrrev_b32_e32 v1, 6, v0
	v_readfirstlane_b32 s55, v1
	s_add_i32 s12, s52, 1
	s_waitcnt lgkmcnt(0)
	s_add_i32 s53, s24, -2
	s_mul_i32 s10, s53, s52
	v_cmp_gt_i32_e32 vcc, s10, v0
	s_and_saveexec_b64 s[2:3], vcc
	s_cbranch_execz .LBB1_18
; %bb.9:
	v_xad_u32 v2, v0, -1, s10
	s_movk_i32 s6, 0xff
	s_mov_b32 s5, 0
	s_mov_b32 s4, s0
	s_sub_i32 s0, s12, s31
	v_cmp_lt_u32_e32 vcc, s6, v2
	s_mov_b64 s[8:9], 0
                                        ; implicit-def: $vgpr1
                                        ; implicit-def: $sgpr11
	s_and_saveexec_b64 s[6:7], vcc
	s_xor_b64 s[6:7], exec, s[6:7]
	s_cbranch_execnz .LBB1_12
; %bb.10:
	s_or_saveexec_b64 s[6:7], s[6:7]
	v_mov_b32_e32 v2, s11
	s_xor_b64 exec, exec, s[6:7]
	s_cbranch_execnz .LBB1_15
.LBB1_11:
	s_or_b64 exec, exec, s[6:7]
	s_and_b64 exec, exec, s[8:9]
	s_cbranch_execnz .LBB1_16
	s_branch .LBB1_18
.LBB1_12:
	v_lshrrev_b32_e32 v1, 8, v2
	v_add_u32_e32 v4, 1, v1
	s_lshl_b32 s11, s52, 3
	v_and_b32_e32 v5, 0x1fffffe, v4
	v_add_u32_e32 v1, 0x100, v0
	s_add_i32 s8, s11, 0
	s_mov_b32 s13, s4
	s_mov_b32 s14, s1
	;; [unrolled: 1-line block ×3, first 2 shown]
	v_lshl_add_u32 v6, v0, 2, s8
	s_mov_b64 s[8:9], 0
	v_mov_b32_e32 v7, 0
	v_mov_b32_e32 v8, v5
	v_pk_mov_b32 v[2:3], v[0:1], v[0:1] op_sel:[0,1]
.LBB1_13:                               ; =>This Inner Loop Header: Depth=1
	v_mul_hi_u32 v1, s4, v2
	v_mul_hi_u32 v9, s13, v3
	v_add_u32_e32 v9, v3, v9
	v_add_u32_e32 v1, v2, v1
	v_add_u32_e32 v8, -2, v8
	v_lshrrev_b32_e32 v1, s14, v1
	v_lshrrev_b32_e32 v9, s1, v9
	v_cmp_eq_u32_e32 vcc, 0, v8
	v_mul_lo_u32 v9, v9, s15
	v_mul_lo_u32 v1, v1, s0
	v_add_u32_e32 v3, 0x200, v3
	v_add_u32_e32 v2, 0x200, v2
	s_or_b64 s[8:9], vcc, s[8:9]
	v_lshl_add_u32 v1, v1, 2, v6
	v_lshl_add_u32 v9, v9, 2, v6
	v_add_u32_e32 v6, 0x800, v6
	ds_write_b32 v1, v7 offset:8
	ds_write_b32 v9, v7 offset:1032
	s_andn2_b64 exec, exec, s[8:9]
	s_cbranch_execnz .LBB1_13
; %bb.14:
	s_or_b64 exec, exec, s[8:9]
	v_cmp_ne_u32_e32 vcc, v4, v5
	v_lshl_add_u32 v1, v5, 8, v0
	s_and_b64 s[8:9], vcc, exec
	s_or_saveexec_b64 s[6:7], s[6:7]
	v_mov_b32_e32 v2, s11
	s_xor_b64 exec, exec, s[6:7]
	s_cbranch_execz .LBB1_11
.LBB1_15:
	s_lshl_b32 s11, s52, 3
	v_mov_b32_e32 v2, s11
	s_or_b64 s[8:9], s[8:9], exec
	v_mov_b32_e32 v1, v0
	s_or_b64 exec, exec, s[6:7]
	s_and_b64 exec, exec, s[8:9]
	s_cbranch_execz .LBB1_18
.LBB1_16:
	v_lshl_add_u32 v2, v1, 2, v2
	v_mad_u64_u32 v[4:5], s[6:7], v1, s4, 0
	s_lshl_b64 s[4:5], s[4:5], 8
	s_lshl_b32 s0, s0, 2
	v_add3_u32 v2, v2, 0, 8
	s_mov_b64 s[6:7], 0
	v_mov_b32_e32 v3, 0
	v_mov_b32_e32 v6, s5
.LBB1_17:                               ; =>This Inner Loop Header: Depth=1
	v_add_co_u32_e32 v4, vcc, s4, v4
	v_add_u32_e32 v7, v1, v5
	v_add_u32_e32 v1, 0x100, v1
	v_addc_co_u32_e32 v5, vcc, v5, v6, vcc
	v_lshrrev_b32_e32 v7, s1, v7
	v_cmp_le_i32_e32 vcc, s10, v1
	v_mad_u64_u32 v[8:9], s[8:9], s0, v7, v[2:3]
	v_add_u32_e32 v2, 0x400, v2
	s_or_b64 s[6:7], vcc, s[6:7]
	ds_write_b32 v8, v3
	s_andn2_b64 exec, exec, s[6:7]
	s_cbranch_execnz .LBB1_17
.LBB1_18:
	s_or_b64 exec, exec, s[2:3]
	s_cmp_gt_i32 s33, 0
	s_mov_b32 s3, 0
	s_cselect_b64 s[34:35], -1, 0
	s_cmp_lt_i32 s33, 1
	s_mul_i32 s54, s28, s53
	s_waitcnt lgkmcnt(0)
	s_barrier
	s_cbranch_scc1 .LBB1_26
; %bb.19:
	s_lshl_b32 s0, s12, 3
	s_mov_b32 s2, s29
	s_add_i32 s13, s0, 0
	v_cmp_gt_i32_e32 vcc, s54, v0
	s_sub_i32 s14, 0, s28
	v_mad_u64_u32 v[2:3], s[0:1], v0, s29, 0
	s_lshl_b64 s[4:5], s[2:3], 8
	v_mov_b32_e32 v5, 0
	s_mov_b32 s2, 0
	s_branch .LBB1_21
.LBB1_20:                               ;   in Loop: Header=BB1_21 Depth=1
	s_or_b64 exec, exec, s[6:7]
	s_add_i32 s2, s2, s53
	s_add_i32 s3, s3, s54
	s_cmp_ge_i32 s2, s33
	s_barrier
	s_cbranch_scc1 .LBB1_26
.LBB1_21:                               ; =>This Loop Header: Depth=1
                                        ;     Child Loop BB1_24 Depth 2
	s_and_saveexec_b64 s[6:7], vcc
	s_cbranch_execz .LBB1_20
; %bb.22:                               ;   in Loop: Header=BB1_21 Depth=1
	s_mov_b64 s[8:9], 0
	v_pk_mov_b32 v[6:7], v[2:3], v[2:3] op_sel:[0,1]
	v_mov_b32_e32 v1, v0
	s_branch .LBB1_24
.LBB1_23:                               ;   in Loop: Header=BB1_24 Depth=2
	s_or_b64 exec, exec, s[10:11]
	v_add_u32_e32 v1, 0x100, v1
	v_cmp_le_i32_e64 s[0:1], s54, v1
	v_mov_b32_e32 v4, s5
	s_or_b64 s[8:9], s[0:1], s[8:9]
	v_add_co_u32_e64 v6, s[0:1], s4, v6
	v_addc_co_u32_e64 v7, s[0:1], v7, v4, s[0:1]
	s_waitcnt lgkmcnt(0)
	s_andn2_b64 exec, exec, s[8:9]
	s_cbranch_execz .LBB1_20
.LBB1_24:                               ;   Parent Loop BB1_21 Depth=1
                                        ; =>  This Inner Loop Header: Depth=2
	v_add_u32_e32 v4, v1, v7
	v_lshrrev_b32_e32 v8, s30, v4
	v_add_u32_e32 v4, s2, v8
	v_cmp_gt_i32_e64 s[0:1], s33, v4
	s_and_saveexec_b64 s[10:11], s[0:1]
	s_cbranch_execz .LBB1_23
; %bb.25:                               ;   in Loop: Header=BB1_24 Depth=2
	v_add_u32_e32 v4, s3, v1
	v_lshlrev_b64 v[10:11], 2, v[4:5]
	v_mov_b32_e32 v4, s37
	v_add_co_u32_e64 v10, s[0:1], s36, v10
	v_addc_co_u32_e64 v11, s[0:1], v4, v11, s[0:1]
	global_load_dword v4, v[10:11], off
	v_mul_lo_u32 v9, s14, v8
	v_mul_lo_u32 v8, v8, s12
	v_lshlrev_b32_e32 v8, 2, v8
	v_add3_u32 v9, v1, v9, 1
	s_waitcnt vmcnt(0)
	v_lshlrev_b32_e32 v4, 2, v4
	v_add3_u32 v4, s13, v4, v8
	ds_write_b32 v4, v9
	s_branch .LBB1_23
.LBB1_26:
	v_cmp_eq_u32_e32 vcc, 0, v0
	s_and_saveexec_b64 s[0:1], vcc
	s_cbranch_execz .LBB1_28
; %bb.27:
	v_mov_b32_e32 v1, 0
	ds_write_b32 v1, v1
.LBB1_28:
	s_or_b64 exec, exec, s[0:1]
	v_mbcnt_lo_u32_b32 v1, -1, 0
	v_and_b32_e32 v9, 7, v0
	v_mbcnt_hi_u32_b32 v12, -1, v1
	v_lshrrev_b32_e32 v8, 3, v0
	v_mul_lo_u32 v1, s12, v9
	v_cmp_gt_i32_e64 s[0:1], s52, v8
	v_lshlrev_b32_e32 v10, 2, v1
	v_lshlrev_b32_e32 v11, 2, v8
	s_and_saveexec_b64 s[30:31], s[0:1]
	s_cbranch_execz .LBB1_36
; %bb.29:
	s_cmp_gt_i32 s24, 2
	s_cselect_b64 s[4:5], -1, 0
	s_lshl_b32 s6, s52, 3
	v_lshlrev_b32_e32 v3, 2, v12
	v_add3_u32 v4, v10, s6, v11
	s_lshl_b32 s24, s52, 8
	s_lshl_b32 s29, s52, 5
	v_cndmask_b32_e64 v5, 0, 1, s[4:5]
	v_xor_b32_e32 v1, 4, v3
	v_xor_b32_e32 v2, 8, v3
	;; [unrolled: 1-line block ×3, first 2 shown]
	v_cmp_eq_u32_e64 s[2:3], 0, v9
	v_add3_u32 v4, v4, 0, 8
	s_addk_i32 s24, 0x100
	s_add_i32 s56, s29, 32
	s_mov_b64 s[42:43], 0
	v_cmp_ne_u32_e64 s[4:5], 1, v5
	v_mov_b32_e32 v5, v8
	s_branch .LBB1_31
.LBB1_30:                               ;   in Loop: Header=BB1_31 Depth=1
	s_or_b64 exec, exec, s[6:7]
	v_add_u32_e32 v5, 32, v5
	v_cmp_le_i32_e32 vcc, s52, v5
	s_or_b64 s[42:43], vcc, s[42:43]
	v_add_u32_e32 v4, 0x80, v4
	s_andn2_b64 exec, exec, s[42:43]
	s_cbranch_execz .LBB1_36
.LBB1_31:                               ; =>This Loop Header: Depth=1
                                        ;     Child Loop BB1_33 Depth 2
	s_and_b64 vcc, exec, s[4:5]
	v_mov_b32_e32 v6, 0
	s_cbranch_vccnz .LBB1_34
; %bb.32:                               ;   in Loop: Header=BB1_31 Depth=1
	s_mov_b32 s57, 0
	v_mov_b32_e32 v6, 0
	v_mov_b32_e32 v7, v4
.LBB1_33:                               ;   Parent Loop BB1_31 Depth=1
                                        ; =>  This Inner Loop Header: Depth=2
	ds_read_b32 v13, v7
	v_add_u32_e32 v14, s29, v7
	v_add_u32_e32 v15, s56, v14
	ds_read_b32 v14, v14 offset:32
	v_add_u32_e32 v16, s56, v15
	ds_read_b32 v15, v15 offset:32
	;; [unrolled: 2-line block ×3, first 2 shown]
	ds_read_b32 v18, v17 offset:32
	v_add_u32_e32 v17, s56, v17
	s_waitcnt lgkmcnt(4)
	v_cmp_ne_u32_e32 vcc, 0, v13
	v_cndmask_b32_e64 v13, 0, 1, vcc
	ds_read_b32 v19, v17 offset:32
	v_add_u32_e32 v17, s56, v17
	s_waitcnt lgkmcnt(4)
	v_cmp_ne_u32_e64 s[6:7], 0, v14
	ds_read_b32 v20, v17 offset:32
	v_add_u32_e32 v17, s56, v17
	ds_bpermute_b32 v13, v1, v13
	v_cndmask_b32_e64 v14, 0, 1, s[6:7]
	s_waitcnt lgkmcnt(5)
	v_cmp_ne_u32_e64 s[8:9], 0, v15
	ds_read_b32 v17, v17 offset:32
	v_cndmask_b32_e64 v15, 0, 1, s[8:9]
	ds_bpermute_b32 v14, v1, v14
	s_waitcnt lgkmcnt(6)
	v_cmp_ne_u32_e64 s[10:11], 0, v16
	v_cndmask_b32_e64 v16, 0, 1, s[10:11]
	ds_bpermute_b32 v15, v1, v15
	s_waitcnt lgkmcnt(6)
	v_cmp_ne_u32_e64 s[12:13], 0, v18
	;; [unrolled: 4-line block ×4, first 2 shown]
	s_waitcnt lgkmcnt(5)
	v_addc_co_u32_e64 v21, s[18:19], 0, v13, vcc
	v_cndmask_b32_e64 v20, 0, 1, s[16:17]
	ds_bpermute_b32 v19, v1, v19
	s_waitcnt lgkmcnt(5)
	v_cmp_ne_u32_e64 s[18:19], 0, v17
	v_cndmask_b32_e64 v17, 0, 1, s[18:19]
	ds_bpermute_b32 v21, v2, v21
	s_waitcnt lgkmcnt(5)
	v_addc_co_u32_e64 v22, s[20:21], 0, v14, s[6:7]
	ds_bpermute_b32 v20, v1, v20
	ds_bpermute_b32 v22, v2, v22
	s_waitcnt lgkmcnt(6)
	v_addc_co_u32_e64 v23, s[20:21], 0, v15, s[8:9]
	ds_bpermute_b32 v17, v1, v17
	ds_bpermute_b32 v23, v2, v23
	s_waitcnt lgkmcnt(7)
	v_addc_co_u32_e64 v24, s[20:21], 0, v16, s[10:11]
	ds_bpermute_b32 v24, v2, v24
	s_waitcnt lgkmcnt(7)
	v_addc_co_u32_e64 v25, s[20:21], 0, v18, s[12:13]
	ds_bpermute_b32 v25, v2, v25
	s_waitcnt lgkmcnt(7)
	v_addc_co_u32_e64 v26, s[20:21], 0, v19, s[14:15]
	s_waitcnt lgkmcnt(6)
	v_addc_co_u32_e32 v13, vcc, v21, v13, vcc
	ds_bpermute_b32 v21, v2, v26
	s_waitcnt lgkmcnt(6)
	v_addc_co_u32_e64 v26, vcc, 0, v20, s[16:17]
	ds_bpermute_b32 v27, v3, v13
	s_waitcnt lgkmcnt(6)
	v_addc_co_u32_e64 v14, vcc, v22, v14, s[6:7]
	;; [unrolled: 3-line block ×4, first 2 shown]
	ds_bpermute_b32 v23, v2, v26
	ds_bpermute_b32 v26, v3, v15
	s_waitcnt lgkmcnt(7)
	v_addc_co_u32_e64 v16, vcc, v24, v16, s[10:11]
	ds_bpermute_b32 v24, v3, v16
	s_waitcnt lgkmcnt(7)
	v_addc_co_u32_e64 v18, vcc, v25, v18, s[12:13]
	;; [unrolled: 3-line block ×3, first 2 shown]
	s_waitcnt lgkmcnt(6)
	v_add3_u32 v6, v13, v6, v27
	ds_bpermute_b32 v13, v3, v19
	s_waitcnt lgkmcnt(6)
	v_addc_co_u32_e64 v20, vcc, v22, v20, s[16:17]
	s_waitcnt lgkmcnt(5)
	v_add3_u32 v6, v6, v14, v28
	ds_bpermute_b32 v14, v3, v20
	s_waitcnt lgkmcnt(5)
	v_addc_co_u32_e64 v17, vcc, v23, v17, s[18:19]
	s_waitcnt lgkmcnt(4)
	v_add3_u32 v6, v6, v15, v26
	ds_bpermute_b32 v15, v3, v17
	s_waitcnt lgkmcnt(4)
	v_add3_u32 v6, v6, v16, v24
	s_waitcnt lgkmcnt(3)
	v_add3_u32 v6, v6, v18, v25
	;; [unrolled: 2-line block ×3, first 2 shown]
	s_add_i32 s57, s57, 64
	s_waitcnt lgkmcnt(1)
	v_add3_u32 v6, v6, v20, v14
	v_add_u32_e32 v7, s24, v7
	s_cmp_lt_i32 s57, s53
	s_waitcnt lgkmcnt(0)
	v_add3_u32 v6, v6, v17, v15
	s_cbranch_scc1 .LBB1_33
.LBB1_34:                               ;   in Loop: Header=BB1_31 Depth=1
	s_and_saveexec_b64 s[6:7], s[2:3]
	s_cbranch_execz .LBB1_30
; %bb.35:                               ;   in Loop: Header=BB1_31 Depth=1
	v_lshl_add_u32 v7, v5, 2, 0
	ds_write_b32 v7, v6 offset:4
	s_branch .LBB1_30
.LBB1_36:
	s_or_b64 exec, exec, s[30:31]
	s_lshl_b32 s12, s52, 2
	s_add_i32 s13, s12, 0
	v_mov_b32_e32 v1, 0
	v_mov_b32_e32 v2, s13
	v_cmp_gt_i32_e64 s[2:3], s52, v0
	ds_write_b32 v2, v1 offset:4
	s_and_saveexec_b64 s[4:5], s[2:3]
	s_cbranch_execz .LBB1_46
; %bb.37:
	v_xad_u32 v1, v0, -1, s52
	s_movk_i32 s6, 0xff
	v_cmp_lt_u32_e32 vcc, s6, v1
	s_mov_b64 s[8:9], 0
                                        ; implicit-def: $vgpr2
	s_and_saveexec_b64 s[6:7], vcc
	s_xor_b64 s[6:7], exec, s[6:7]
	s_cbranch_execnz .LBB1_40
; %bb.38:
	s_or_saveexec_b64 s[6:7], s[6:7]
	v_mov_b32_e32 v1, s12
	s_xor_b64 exec, exec, s[6:7]
	s_cbranch_execnz .LBB1_43
.LBB1_39:
	s_or_b64 exec, exec, s[6:7]
	s_and_b64 exec, exec, s[8:9]
	s_cbranch_execnz .LBB1_44
	s_branch .LBB1_46
.LBB1_40:
	v_lshrrev_b32_e32 v1, 8, v1
	v_add_u32_e32 v6, 1, v1
	v_and_b32_e32 v7, 0x1fffffe, v6
	v_add_u32_e32 v1, 0x100, v0
	v_lshlrev_b32_e32 v2, 2, v0
	v_add3_u32 v13, s13, v2, 8
	v_mov_b32_e32 v14, s41
	v_mov_b32_e32 v3, 0
	;; [unrolled: 1-line block ×3, first 2 shown]
	v_pk_mov_b32 v[4:5], v[0:1], v[0:1] op_sel:[0,1]
.LBB1_41:                               ; =>This Inner Loop Header: Depth=1
	v_mov_b32_e32 v2, v4
	v_lshlrev_b64 v[16:17], 2, v[2:3]
	v_mov_b32_e32 v2, v5
	v_add_co_u32_e32 v16, vcc, s40, v16
	v_addc_co_u32_e32 v17, vcc, v14, v17, vcc
	v_lshlrev_b64 v[18:19], 2, v[2:3]
	v_add_co_u32_e32 v18, vcc, s40, v18
	v_addc_co_u32_e32 v19, vcc, v14, v19, vcc
	global_load_dword v1, v[16:17], off
	global_load_dword v2, v[18:19], off
	v_add_u32_e32 v15, -2, v15
	v_cmp_eq_u32_e32 vcc, 0, v15
	v_add_u32_e32 v4, 0x200, v4
	v_add_u32_e32 v5, 0x200, v5
	s_or_b64 s[8:9], vcc, s[8:9]
	s_waitcnt vmcnt(0)
	ds_write2st64_b32 v13, v1, v2 offset1:4
	v_add_u32_e32 v13, 0x800, v13
	s_andn2_b64 exec, exec, s[8:9]
	s_cbranch_execnz .LBB1_41
; %bb.42:
	s_or_b64 exec, exec, s[8:9]
	v_cmp_ne_u32_e32 vcc, v6, v7
	v_lshl_add_u32 v2, v7, 8, v0
	s_and_b64 s[8:9], vcc, exec
	s_or_saveexec_b64 s[6:7], s[6:7]
	v_mov_b32_e32 v1, s12
	s_xor_b64 exec, exec, s[6:7]
	s_cbranch_execz .LBB1_39
.LBB1_43:
	v_mov_b32_e32 v1, s12
	s_or_b64 s[8:9], s[8:9], exec
	v_mov_b32_e32 v2, v0
	s_or_b64 exec, exec, s[6:7]
	s_and_b64 exec, exec, s[8:9]
	s_cbranch_execz .LBB1_46
.LBB1_44:
	v_mov_b32_e32 v3, 0
	v_lshlrev_b64 v[4:5], 2, v[2:3]
	v_lshl_add_u32 v1, v2, 2, v1
	v_mov_b32_e32 v3, s41
	v_add_co_u32_e32 v4, vcc, s40, v4
	v_add3_u32 v1, v1, 0, 8
	v_addc_co_u32_e32 v5, vcc, v3, v5, vcc
	s_mov_b64 s[6:7], 0
.LBB1_45:                               ; =>This Inner Loop Header: Depth=1
	global_load_dword v3, v[4:5], off
	v_add_co_u32_e32 v4, vcc, 0x400, v4
	v_add_u32_e32 v2, 0x100, v2
	v_addc_co_u32_e32 v5, vcc, 0, v5, vcc
	v_cmp_le_i32_e32 vcc, s52, v2
	s_or_b64 s[6:7], vcc, s[6:7]
	s_waitcnt vmcnt(0)
	ds_write_b32 v1, v3
	v_add_u32_e32 v1, 0x400, v1
	s_andn2_b64 exec, exec, s[6:7]
	s_cbranch_execnz .LBB1_45
.LBB1_46:
	s_or_b64 exec, exec, s[4:5]
	s_add_i32 s20, s13, 4
	s_cmp_lg_u32 s55, 0
	s_waitcnt lgkmcnt(0)
	s_barrier
	s_cbranch_scc1 .LBB1_57
; %bb.47:
	s_mov_b32 s14, 0
	s_cmp_lt_i32 s52, 1
	v_mov_b32_e32 v2, 0
	s_cbranch_scc1 .LBB1_54
; %bb.48:
	v_lshlrev_b32_e32 v2, 2, v12
	v_and_b32_e32 v3, 0xc0, v2
	v_cmp_eq_u32_e32 vcc, 0, v12
	s_add_i32 s15, s25, -1
	v_add_u32_e32 v1, -4, v3
	v_cmp_lt_u32_e64 s[4:5], 15, v12
	v_add_u32_e32 v3, 0xffffffbc, v3
	v_cmp_lt_u32_e64 s[6:7], 31, v12
	v_add_u32_e32 v4, 0, v2
	s_branch .LBB1_50
.LBB1_49:                               ;   in Loop: Header=BB1_50 Depth=1
	s_or_b64 exec, exec, s[10:11]
	s_add_i32 s14, s14, 64
	s_cmp_lt_i32 s14, s52
	v_add_u32_e32 v4, 0x100, v4
	s_waitcnt lgkmcnt(0)
	s_cbranch_scc0 .LBB1_54
.LBB1_50:                               ; =>This Inner Loop Header: Depth=1
	ds_read_b32 v7, v4 offset:4
	v_mov_b32_e32 v2, s14
	v_add_u32_e32 v5, s12, v4
	ds_read_b32 v6, v5 offset:8
	v_cndmask_b32_e32 v2, 0, v2, vcc
	s_waitcnt lgkmcnt(1)
	v_add_u32_e32 v7, s15, v7
	v_lshlrev_b32_e32 v2, 2, v2
	v_mul_hi_u32 v14, v7, s26
	v_add_u32_e32 v13, 0, v2
	v_add_u32_e32 v7, v7, v14
	v_lshrrev_b32_e32 v14, s27, v7
	v_add_u32_e32 v2, s20, v2
	ds_read_b32 v13, v13
	ds_read_b32 v7, v2
	v_mul_lo_u32 v2, v14, s25
	s_waitcnt lgkmcnt(2)
	v_cmp_ne_u32_e64 s[8:9], 0, v6
	v_cndmask_b32_e64 v2, 0, v2, s[8:9]
	s_waitcnt lgkmcnt(1)
	v_add_u32_e32 v2, v2, v13
	v_add_u32_e32 v14, s14, v12
	v_cmp_gt_i32_e64 s[8:9], s52, v14
	v_add_u32_dpp v2, v2, v2 row_shr:1 row_mask:0xf bank_mask:0xf bound_ctrl:1
	s_nop 1
	v_add_u32_dpp v2, v2, v2 row_shr:2 row_mask:0xf bank_mask:0xf bound_ctrl:1
	s_nop 1
	;; [unrolled: 2-line block ×3, first 2 shown]
	v_add_u32_dpp v2, v2, v2 row_shr:8 row_mask:0xf bank_mask:0xf bound_ctrl:1
	ds_bpermute_b32 v13, v1, v2
	s_waitcnt lgkmcnt(0)
	v_cndmask_b32_e64 v13, 0, v13, s[4:5]
	v_add_u32_e32 v2, v2, v13
	ds_bpermute_b32 v13, v3, v2
	s_waitcnt lgkmcnt(0)
	v_cndmask_b32_e64 v13, 0, v13, s[6:7]
	v_add_u32_e32 v2, v2, v13
	s_and_saveexec_b64 s[10:11], s[8:9]
	s_cbranch_execz .LBB1_52
; %bb.51:                               ;   in Loop: Header=BB1_50 Depth=1
	ds_write_b32 v4, v2 offset:4
.LBB1_52:                               ;   in Loop: Header=BB1_50 Depth=1
	s_or_b64 exec, exec, s[10:11]
	v_add_u32_e32 v6, v6, v7
	s_nop 1
	v_add_u32_dpp v6, v6, v6 row_shr:1 row_mask:0xf bank_mask:0xf bound_ctrl:1
	s_nop 1
	v_add_u32_dpp v6, v6, v6 row_shr:2 row_mask:0xf bank_mask:0xf bound_ctrl:1
	;; [unrolled: 2-line block ×4, first 2 shown]
	ds_bpermute_b32 v7, v1, v6
	s_waitcnt lgkmcnt(0)
	v_cndmask_b32_e64 v7, 0, v7, s[4:5]
	v_add_u32_e32 v6, v7, v6
	ds_bpermute_b32 v7, v3, v6
	s_and_saveexec_b64 s[10:11], s[8:9]
	s_cbranch_execz .LBB1_49
; %bb.53:                               ;   in Loop: Header=BB1_50 Depth=1
	s_waitcnt lgkmcnt(0)
	v_cndmask_b32_e64 v7, 0, v7, s[6:7]
	v_add_u32_e32 v6, v7, v6
	ds_write_b32 v5, v6 offset:8
	s_branch .LBB1_49
.LBB1_54:
	v_add_u32_e32 v1, s14, v12
	v_subrev_u32_e32 v1, 63, v1
	v_cmp_eq_u32_e32 vcc, s52, v1
	s_and_saveexec_b64 s[4:5], vcc
	s_cbranch_execz .LBB1_56
; %bb.55:
	v_mov_b32_e32 v1, 0
	v_mov_b32_e32 v3, s33
	global_store_dwordx2 v1, v[2:3], s[50:51]
.LBB1_56:
	s_or_b64 exec, exec, s[4:5]
.LBB1_57:
	s_cmp_eq_u64 s[22:23], 0
	s_barrier
	s_cbranch_scc1 .LBB1_64
; %bb.58:
	s_mul_i32 s10, s33, s28
	v_cmp_gt_i32_e32 vcc, s10, v0
	s_and_saveexec_b64 s[6:7], vcc
	s_cbranch_execz .LBB1_63
; %bb.59:
	v_lshlrev_b32_e32 v1, 2, v0
	v_mov_b32_e32 v3, s37
	v_add_co_u32_e32 v2, vcc, s36, v1
	v_addc_co_u32_e32 v3, vcc, 0, v3, vcc
	v_mov_b32_e32 v5, s23
	v_add_co_u32_e32 v4, vcc, s22, v1
	v_addc_co_u32_e32 v5, vcc, 0, v5, vcc
	s_mov_b64 s[8:9], 0
	v_mov_b32_e32 v1, s41
	v_mov_b32_e32 v13, v0
	s_branch .LBB1_61
.LBB1_60:                               ;   in Loop: Header=BB1_61 Depth=1
	s_or_b64 exec, exec, s[4:5]
	v_add_co_u32_e32 v2, vcc, 0x400, v2
	v_add_u32_e32 v13, 0x100, v13
	v_addc_co_u32_e32 v3, vcc, 0, v3, vcc
	s_waitcnt lgkmcnt(0)
	global_store_dword v[4:5], v7, off
	v_add_co_u32_e32 v4, vcc, 0x400, v4
	v_cmp_le_i32_e64 s[4:5], s10, v13
	s_or_b64 s[8:9], s[4:5], s[8:9]
	v_addc_co_u32_e32 v5, vcc, 0, v5, vcc
	s_andn2_b64 exec, exec, s[8:9]
	s_cbranch_execz .LBB1_63
.LBB1_61:                               ; =>This Inner Loop Header: Depth=1
	global_load_dword v6, v[2:3], off
	s_waitcnt vmcnt(0)
	v_ashrrev_i32_e32 v7, 31, v6
	v_lshlrev_b64 v[14:15], 2, v[6:7]
	v_add_co_u32_e32 v14, vcc, s40, v14
	v_addc_co_u32_e32 v15, vcc, v1, v15, vcc
	global_load_dword v7, v[14:15], off
	s_waitcnt vmcnt(0)
	v_cmp_ne_u32_e32 vcc, 0, v7
	v_mov_b32_e32 v7, -1
	s_and_saveexec_b64 s[4:5], vcc
	s_cbranch_execz .LBB1_60
; %bb.62:                               ;   in Loop: Header=BB1_61 Depth=1
	v_lshl_add_u32 v6, v6, 2, s20
	ds_read_b32 v7, v6
	s_branch .LBB1_60
.LBB1_63:
	s_or_b64 exec, exec, s[6:7]
	s_barrier
.LBB1_64:
	s_and_saveexec_b64 s[6:7], s[2:3]
	s_cbranch_execz .LBB1_71
; %bb.65:
	s_mov_b64 s[8:9], 0
	v_mov_b32_e32 v3, 0
	v_mov_b32_e32 v4, v0
	s_branch .LBB1_67
.LBB1_66:                               ;   in Loop: Header=BB1_67 Depth=1
	s_or_b64 exec, exec, s[10:11]
	v_add_u32_e32 v4, 0x100, v4
	v_cmp_le_i32_e32 vcc, s52, v4
	s_or_b64 s[8:9], vcc, s[8:9]
	s_andn2_b64 exec, exec, s[8:9]
	s_cbranch_execz .LBB1_71
.LBB1_67:                               ; =>This Loop Header: Depth=1
                                        ;     Child Loop BB1_70 Depth 2
	s_waitcnt lgkmcnt(1)
	v_lshlrev_b32_e32 v1, 2, v4
	v_add_u32_e32 v2, 0, v1
	ds_read2_b32 v[6:7], v2 offset1:1
	v_add_u32_e32 v2, s20, v1
	ds_read_b32 v1, v2
	s_waitcnt lgkmcnt(1)
	v_cmp_ne_u32_e32 vcc, v6, v7
	ds_write_b32 v2, v6
	s_and_saveexec_b64 s[10:11], vcc
	s_cbranch_execz .LBB1_66
; %bb.68:                               ;   in Loop: Header=BB1_67 Depth=1
	v_mov_b32_e32 v5, v3
	v_lshlrev_b64 v[14:15], 2, v[4:5]
	v_mov_b32_e32 v2, s41
	v_add_co_u32_e32 v14, vcc, s40, v14
	v_addc_co_u32_e32 v15, vcc, v2, v15, vcc
	global_load_dword v2, v[14:15], off
	v_cmp_lt_i32_e64 s[4:5], v6, v7
	s_waitcnt vmcnt(0)
	v_cmp_ne_u32_e32 vcc, 0, v2
	s_and_b64 s[4:5], s[4:5], vcc
	s_and_b64 exec, exec, s[4:5]
	s_cbranch_execz .LBB1_66
; %bb.69:                               ;   in Loop: Header=BB1_67 Depth=1
	s_mov_b64 s[4:5], 0
.LBB1_70:                               ;   Parent Loop BB1_67 Depth=1
                                        ; =>  This Inner Loop Header: Depth=2
	v_mul_hi_u32 v2, s26, v6
	v_add_u32_e32 v2, v6, v2
	v_add_u32_e32 v6, s25, v6
	v_lshrrev_b32_e32 v2, s27, v2
	v_cmp_ge_i32_e32 vcc, v6, v7
	v_lshlrev_b64 v[14:15], 2, v[2:3]
	v_mov_b32_e32 v5, s49
	s_or_b64 s[4:5], vcc, s[4:5]
	v_add_co_u32_e32 v14, vcc, s48, v14
	v_addc_co_u32_e32 v15, vcc, v5, v15, vcc
	s_waitcnt lgkmcnt(1)
	global_store_dword v[14:15], v1, off
	s_andn2_b64 exec, exec, s[4:5]
	s_cbranch_execnz .LBB1_70
	s_branch .LBB1_66
.LBB1_71:
	s_or_b64 exec, exec, s[6:7]
	s_waitcnt lgkmcnt(1)
	v_mov_b32_e32 v1, s13
	s_waitcnt lgkmcnt(0)
	s_barrier
	ds_read_b32 v1, v1
	s_add_i32 s4, s13, s12
	v_mov_b32_e32 v2, s4
	s_andn2_b64 vcc, exec, s[34:35]
	s_waitcnt lgkmcnt(0)
	ds_write_b32 v2, v1 offset:4
	s_cbranch_vccnz .LBB1_85
; %bb.72:
	s_add_u32 s22, s44, -4
	s_addc_u32 s23, s45, -1
	s_add_u32 s24, s38, -4
	s_addc_u32 s25, s39, -1
	;; [unrolled: 2-line block ×3, first 2 shown]
	s_lshl_b32 s6, s52, 3
	v_and_b32_e32 v1, 8, v12
	v_add3_u32 v2, v10, s6, v11
	s_lshl_b32 s30, s52, 5
	v_cmp_gt_i32_e32 vcc, s53, v9
	s_mov_b32 s21, 0
	v_cmp_eq_u32_e64 s[4:5], 0, v1
	v_lshl_or_b32 v1, v0, 2, 28
	v_mul_lo_u32 v4, s28, v9
	s_lshl_b32 s29, s28, 3
	v_add3_u32 v5, v2, 0, 8
	s_add_i32 s30, s30, 32
	v_mov_b32_e32 v3, 0
	s_mov_b32 s31, 0x4020100
	s_branch .LBB1_74
.LBB1_73:                               ;   in Loop: Header=BB1_74 Depth=1
	s_or_b64 exec, exec, s[10:11]
	s_add_i32 s21, s21, s53
	s_cmp_ge_i32 s21, s33
	v_add_u32_e32 v4, s54, v4
	s_waitcnt lgkmcnt(0)
	s_barrier
	s_cbranch_scc1 .LBB1_85
.LBB1_74:                               ; =>This Loop Header: Depth=1
                                        ;     Child Loop BB1_79 Depth 2
                                        ;       Child Loop BB1_83 Depth 3
	s_and_saveexec_b64 s[10:11], s[0:1]
	s_cbranch_execz .LBB1_73
; %bb.75:                               ;   in Loop: Header=BB1_74 Depth=1
	s_mov_b64 s[12:13], 0
	v_mov_b32_e32 v6, v5
	v_mov_b32_e32 v2, v8
	s_branch .LBB1_79
.LBB1_76:                               ;   in Loop: Header=BB1_79 Depth=2
	s_or_b64 exec, exec, s[18:19]
.LBB1_77:                               ;   in Loop: Header=BB1_79 Depth=2
	s_or_b64 exec, exec, s[16:17]
	s_waitcnt lgkmcnt(0)
	ds_write_b32 v7, v10
.LBB1_78:                               ;   in Loop: Header=BB1_79 Depth=2
	s_or_b64 exec, exec, s[14:15]
	v_add_u32_e32 v2, 32, v2
	v_cmp_le_i32_e64 s[6:7], s52, v2
	s_or_b64 s[12:13], s[6:7], s[12:13]
	v_add_u32_e32 v6, 0x80, v6
	s_andn2_b64 exec, exec, s[12:13]
	s_cbranch_execz .LBB1_73
.LBB1_79:                               ;   Parent Loop BB1_74 Depth=1
                                        ; =>  This Loop Header: Depth=2
                                        ;       Child Loop BB1_83 Depth 3
	v_lshlrev_b64 v[10:11], 2, v[2:3]
	v_mov_b32_e32 v7, s41
	v_add_co_u32_e64 v10, s[6:7], s40, v10
	v_addc_co_u32_e64 v11, s[6:7], v7, v11, s[6:7]
	global_load_dword v7, v[10:11], off
	s_waitcnt vmcnt(0)
	v_cmp_ne_u32_e64 s[6:7], 0, v7
	s_and_saveexec_b64 s[14:15], s[6:7]
	s_cbranch_execz .LBB1_78
; %bb.80:                               ;   in Loop: Header=BB1_79 Depth=2
	v_lshl_add_u32 v7, v2, 2, 0
	ds_read_b32 v10, v7
	s_and_saveexec_b64 s[16:17], vcc
	s_cbranch_execz .LBB1_77
; %bb.81:                               ;   in Loop: Header=BB1_79 Depth=2
	s_mov_b64 s[18:19], 0
	v_mov_b32_e32 v11, v6
	v_mov_b32_e32 v12, v4
	;; [unrolled: 1-line block ×3, first 2 shown]
	s_branch .LBB1_83
.LBB1_82:                               ;   in Loop: Header=BB1_83 Depth=3
	s_or_b64 exec, exec, s[8:9]
	ds_bpermute_b32 v14, v1, v14
	v_add_u32_e32 v13, 8, v13
	v_cmp_le_i32_e64 s[6:7], s53, v13
	v_add_u32_e32 v12, s29, v12
	s_or_b64 s[18:19], s[6:7], s[18:19]
	s_waitcnt lgkmcnt(0)
	v_add_u32_e32 v10, v14, v10
	v_add_u32_e32 v11, s30, v11
	s_andn2_b64 exec, exec, s[18:19]
	s_cbranch_execz .LBB1_76
.LBB1_83:                               ;   Parent Loop BB1_74 Depth=1
                                        ;     Parent Loop BB1_79 Depth=2
                                        ; =>    This Inner Loop Header: Depth=3
	ds_read_b32 v15, v11
	s_waitcnt lgkmcnt(0)
	v_cmp_ne_u32_e64 s[6:7], 0, v15
	v_cndmask_b32_e64 v14, 0, 1, s[6:7]
	s_nop 1
	v_mov_b32_dpp v14, v14 row_shr:1 row_mask:0xf bank_mask:0xf bound_ctrl:1
	v_addc_co_u32_e64 v16, s[8:9], 0, v14, s[6:7]
	s_nop 1
	v_mov_b32_dpp v16, v16 row_shr:2 row_mask:0xf bank_mask:0xf bound_ctrl:1
	v_addc_co_u32_e64 v14, s[8:9], v16, v14, s[6:7]
	s_nop 1
	v_add_u32_dpp v14, v14, v14 row_shr:4 row_mask:0xf bank_mask:0xf bound_ctrl:1
	s_nop 1
	v_add_u32_dpp v14, v14, v14 row_shr:8 row_mask:0xf bank_mask:0xf bound_ctrl:1
	s_nop 1
	v_mov_b32_dpp v16, v14 row_newbcast:7 row_mask:0xf bank_mask:0xf bound_ctrl:1
	v_cndmask_b32_e64 v16, v16, 0, s[4:5]
	v_sub_u32_e32 v14, v14, v16
	s_and_saveexec_b64 s[8:9], s[6:7]
	s_cbranch_execz .LBB1_82
; %bb.84:                               ;   in Loop: Header=BB1_83 Depth=3
	v_add_u32_e32 v16, v12, v15
	v_ashrrev_i32_e32 v17, 31, v16
	v_lshlrev_b64 v[16:17], 2, v[16:17]
	v_mov_b32_e32 v18, s25
	v_add_co_u32_e64 v16, s[6:7], s24, v16
	v_addc_co_u32_e64 v17, s[6:7], v18, v17, s[6:7]
	global_load_dword v20, v[16:17], off
	v_add_u32_e32 v16, s21, v13
	v_perm_b32 v15, v15, v16, s31
	v_add_u32_e32 v16, v14, v10
	v_ashrrev_i32_e32 v17, 31, v16
	v_lshlrev_b64 v[16:17], 2, v[16:17]
	v_mov_b32_e32 v19, s23
	v_add_co_u32_e64 v18, s[6:7], s22, v16
	v_add_u32_e32 v15, 0xff000000, v15
	v_addc_co_u32_e64 v19, s[6:7], v19, v17, s[6:7]
	global_store_dword v[18:19], v15, off
	v_mov_b32_e32 v15, s27
	v_add_co_u32_e64 v16, s[6:7], s26, v16
	v_addc_co_u32_e64 v17, s[6:7], v15, v17, s[6:7]
	s_waitcnt vmcnt(1)
	global_store_dword v[16:17], v20, off
	s_branch .LBB1_82
.LBB1_85:
	s_and_saveexec_b64 s[0:1], s[2:3]
	s_cbranch_execz .LBB1_96
; %bb.86:
	s_and_b32 s0, s33, 0xffffff
	s_lshl_b32 s1, s28, 24
	s_or_b32 s4, s0, s1
	s_mov_b32 s5, s4
	s_add_i32 s20, s20, 4
	s_mov_b64 s[2:3], 0
	s_mov_b32 s8, 0
	v_mov_b32_e32 v1, 0
	s_branch .LBB1_88
.LBB1_87:                               ;   in Loop: Header=BB1_88 Depth=1
	s_or_b64 exec, exec, s[12:13]
	v_add_u32_e32 v0, 0x100, v0
	v_cmp_le_i32_e32 vcc, s52, v0
	s_or_b64 s[2:3], vcc, s[2:3]
	s_andn2_b64 exec, exec, s[2:3]
	s_cbranch_execz .LBB1_96
.LBB1_88:                               ; =>This Loop Header: Depth=1
                                        ;     Child Loop BB1_91 Depth 2
                                        ;     Child Loop BB1_95 Depth 2
	v_lshlrev_b32_e32 v2, 2, v0
	v_add_u32_e32 v3, 0, v2
	v_add_u32_e32 v4, s20, v2
	ds_read_b32 v2, v3
	ds_read_b32 v8, v4
	s_waitcnt lgkmcnt(0)
	v_cmp_gt_i32_e32 vcc, v8, v2
	s_and_saveexec_b64 s[12:13], vcc
	s_cbranch_execz .LBB1_87
; %bb.89:                               ;   in Loop: Header=BB1_88 Depth=1
	v_sub_u32_e32 v3, v8, v2
	v_cmp_lt_u32_e32 vcc, 15, v3
	s_mov_b64 s[6:7], -1
	s_and_saveexec_b64 s[0:1], vcc
	s_cbranch_execz .LBB1_93
; %bb.90:                               ;   in Loop: Header=BB1_88 Depth=1
	v_and_b32_e32 v6, -16, v3
	s_mov_b64 s[14:15], 0
	v_mov_b32_e32 v4, v2
	v_mov_b32_e32 v7, v6
.LBB1_91:                               ;   Parent Loop BB1_88 Depth=1
                                        ; =>  This Inner Loop Header: Depth=2
	v_ashrrev_i32_e32 v5, 31, v4
	v_lshlrev_b64 v[14:15], 2, v[4:5]
	v_mov_b32_e32 v5, s45
	v_add_co_u32_e32 v16, vcc, s44, v14
	v_addc_co_u32_e32 v17, vcc, v5, v15, vcc
	s_mov_b32 s6, s4
	s_mov_b32 s7, s5
	v_pk_mov_b32 v[12:13], s[6:7], s[6:7] op_sel:[0,1]
	v_mov_b32_e32 v5, s47
	v_add_co_u32_e32 v14, vcc, s46, v14
	v_pk_mov_b32 v[10:11], s[4:5], s[4:5] op_sel:[0,1]
	v_addc_co_u32_e32 v15, vcc, v5, v15, vcc
	s_mov_b32 s10, s8
	s_mov_b32 s11, s8
	v_add_u32_e32 v7, -16, v7
	global_store_dwordx4 v[16:17], v[10:13], off
	global_store_dwordx4 v[16:17], v[10:13], off offset:16
	global_store_dwordx4 v[16:17], v[10:13], off offset:32
	;; [unrolled: 1-line block ×3, first 2 shown]
	s_mov_b32 s9, s8
	v_pk_mov_b32 v[12:13], s[10:11], s[10:11] op_sel:[0,1]
	v_cmp_eq_u32_e32 vcc, 0, v7
	v_pk_mov_b32 v[10:11], s[8:9], s[8:9] op_sel:[0,1]
	s_or_b64 s[14:15], vcc, s[14:15]
	v_add_u32_e32 v4, 16, v4
	global_store_dwordx4 v[14:15], v[10:13], off
	global_store_dwordx4 v[14:15], v[10:13], off offset:16
	global_store_dwordx4 v[14:15], v[10:13], off offset:32
	;; [unrolled: 1-line block ×3, first 2 shown]
	s_andn2_b64 exec, exec, s[14:15]
	s_cbranch_execnz .LBB1_91
; %bb.92:                               ;   in Loop: Header=BB1_88 Depth=1
	s_or_b64 exec, exec, s[14:15]
	v_cmp_ne_u32_e32 vcc, v3, v6
	v_add_u32_e32 v2, v2, v6
	s_orn2_b64 s[6:7], vcc, exec
.LBB1_93:                               ;   in Loop: Header=BB1_88 Depth=1
	s_or_b64 exec, exec, s[0:1]
	s_and_b64 exec, exec, s[6:7]
	s_cbranch_execz .LBB1_87
; %bb.94:                               ;   in Loop: Header=BB1_88 Depth=1
	v_ashrrev_i32_e32 v3, 31, v2
	v_lshlrev_b64 v[6:7], 2, v[2:3]
	v_mov_b32_e32 v3, s45
	v_add_co_u32_e32 v4, vcc, s44, v6
	v_addc_co_u32_e32 v5, vcc, v3, v7, vcc
	v_mov_b32_e32 v3, s47
	v_add_co_u32_e32 v6, vcc, s46, v6
	v_addc_co_u32_e32 v7, vcc, v3, v7, vcc
	s_mov_b64 s[6:7], 0
.LBB1_95:                               ;   Parent Loop BB1_88 Depth=1
                                        ; =>  This Inner Loop Header: Depth=2
	global_store_dword v[6:7], v1, off
	v_add_co_u32_e32 v6, vcc, 4, v6
	v_mov_b32_e32 v3, s4
	v_add_u32_e32 v2, 1, v2
	v_addc_co_u32_e32 v7, vcc, 0, v7, vcc
	global_store_dword v[4:5], v3, off
	v_cmp_ge_i32_e32 vcc, v2, v8
	v_add_co_u32_e64 v4, s[0:1], 4, v4
	s_or_b64 s[6:7], vcc, s[6:7]
	v_addc_co_u32_e64 v5, vcc, 0, v5, s[0:1]
	s_andn2_b64 exec, exec, s[6:7]
	s_cbranch_execnz .LBB1_95
	s_branch .LBB1_87
.LBB1_96:
	s_endpgm
	.section	.rodata,"a",@progbits
	.p2align	6, 0x0
	.amdhsa_kernel _ZN5aiter22opus_moe_sorting_entryINS_16MoeSortingKernelINS_19MoeSortingProblemExIifLi8ELb1ELb1ELb1ELb1ELi0EEEEENS4_5KargsEEEvT0_
		.amdhsa_group_segment_fixed_size 0
		.amdhsa_private_segment_fixed_size 0
		.amdhsa_kernarg_size 400
		.amdhsa_user_sgpr_count 6
		.amdhsa_user_sgpr_private_segment_buffer 1
		.amdhsa_user_sgpr_dispatch_ptr 0
		.amdhsa_user_sgpr_queue_ptr 0
		.amdhsa_user_sgpr_kernarg_segment_ptr 1
		.amdhsa_user_sgpr_dispatch_id 0
		.amdhsa_user_sgpr_flat_scratch_init 0
		.amdhsa_user_sgpr_kernarg_preload_length 0
		.amdhsa_user_sgpr_kernarg_preload_offset 0
		.amdhsa_user_sgpr_private_segment_size 0
		.amdhsa_uses_dynamic_stack 0
		.amdhsa_system_sgpr_private_segment_wavefront_offset 0
		.amdhsa_system_sgpr_workgroup_id_x 1
		.amdhsa_system_sgpr_workgroup_id_y 0
		.amdhsa_system_sgpr_workgroup_id_z 0
		.amdhsa_system_sgpr_workgroup_info 0
		.amdhsa_system_vgpr_workitem_id 0
		.amdhsa_next_free_vgpr 29
		.amdhsa_next_free_sgpr 58
		.amdhsa_accum_offset 32
		.amdhsa_reserve_vcc 1
		.amdhsa_reserve_flat_scratch 0
		.amdhsa_float_round_mode_32 0
		.amdhsa_float_round_mode_16_64 0
		.amdhsa_float_denorm_mode_32 3
		.amdhsa_float_denorm_mode_16_64 3
		.amdhsa_dx10_clamp 1
		.amdhsa_ieee_mode 1
		.amdhsa_fp16_overflow 0
		.amdhsa_tg_split 0
		.amdhsa_exception_fp_ieee_invalid_op 0
		.amdhsa_exception_fp_denorm_src 0
		.amdhsa_exception_fp_ieee_div_zero 0
		.amdhsa_exception_fp_ieee_overflow 0
		.amdhsa_exception_fp_ieee_underflow 0
		.amdhsa_exception_fp_ieee_inexact 0
		.amdhsa_exception_int_div_zero 0
	.end_amdhsa_kernel
	.section	.text._ZN5aiter22opus_moe_sorting_entryINS_16MoeSortingKernelINS_19MoeSortingProblemExIifLi8ELb1ELb1ELb1ELb1ELi0EEEEENS4_5KargsEEEvT0_,"axG",@progbits,_ZN5aiter22opus_moe_sorting_entryINS_16MoeSortingKernelINS_19MoeSortingProblemExIifLi8ELb1ELb1ELb1ELb1ELi0EEEEENS4_5KargsEEEvT0_,comdat
.Lfunc_end1:
	.size	_ZN5aiter22opus_moe_sorting_entryINS_16MoeSortingKernelINS_19MoeSortingProblemExIifLi8ELb1ELb1ELb1ELb1ELi0EEEEENS4_5KargsEEEvT0_, .Lfunc_end1-_ZN5aiter22opus_moe_sorting_entryINS_16MoeSortingKernelINS_19MoeSortingProblemExIifLi8ELb1ELb1ELb1ELb1ELi0EEEEENS4_5KargsEEEvT0_
                                        ; -- End function
	.section	.AMDGPU.csdata,"",@progbits
; Kernel info:
; codeLenInByte = 4708
; NumSgprs: 62
; NumVgprs: 29
; NumAgprs: 0
; TotalNumVgprs: 29
; ScratchSize: 0
; MemoryBound: 0
; FloatMode: 240
; IeeeMode: 1
; LDSByteSize: 0 bytes/workgroup (compile time only)
; SGPRBlocks: 7
; VGPRBlocks: 3
; NumSGPRsForWavesPerEU: 62
; NumVGPRsForWavesPerEU: 29
; AccumOffset: 32
; Occupancy: 8
; WaveLimiterHint : 1
; COMPUTE_PGM_RSRC2:SCRATCH_EN: 0
; COMPUTE_PGM_RSRC2:USER_SGPR: 6
; COMPUTE_PGM_RSRC2:TRAP_HANDLER: 0
; COMPUTE_PGM_RSRC2:TGID_X_EN: 1
; COMPUTE_PGM_RSRC2:TGID_Y_EN: 0
; COMPUTE_PGM_RSRC2:TGID_Z_EN: 0
; COMPUTE_PGM_RSRC2:TIDIG_COMP_CNT: 0
; COMPUTE_PGM_RSRC3_GFX90A:ACCUM_OFFSET: 7
; COMPUTE_PGM_RSRC3_GFX90A:TG_SPLIT: 0
	.section	.text._ZN5aiter22opus_moe_sorting_entryINS_16MoeSortingKernelINS_19MoeSortingProblemExIifLi4ELb1ELb1ELb1ELb1ELi0EEEEENS4_5KargsEEEvT0_,"axG",@progbits,_ZN5aiter22opus_moe_sorting_entryINS_16MoeSortingKernelINS_19MoeSortingProblemExIifLi4ELb1ELb1ELb1ELb1ELi0EEEEENS4_5KargsEEEvT0_,comdat
	.protected	_ZN5aiter22opus_moe_sorting_entryINS_16MoeSortingKernelINS_19MoeSortingProblemExIifLi4ELb1ELb1ELb1ELb1ELi0EEEEENS4_5KargsEEEvT0_ ; -- Begin function _ZN5aiter22opus_moe_sorting_entryINS_16MoeSortingKernelINS_19MoeSortingProblemExIifLi4ELb1ELb1ELb1ELb1ELi0EEEEENS4_5KargsEEEvT0_
	.globl	_ZN5aiter22opus_moe_sorting_entryINS_16MoeSortingKernelINS_19MoeSortingProblemExIifLi4ELb1ELb1ELb1ELb1ELi0EEEEENS4_5KargsEEEvT0_
	.p2align	8
	.type	_ZN5aiter22opus_moe_sorting_entryINS_16MoeSortingKernelINS_19MoeSortingProblemExIifLi4ELb1ELb1ELb1ELb1ELi0EEEEENS4_5KargsEEEvT0_,@function
_ZN5aiter22opus_moe_sorting_entryINS_16MoeSortingKernelINS_19MoeSortingProblemExIifLi4ELb1ELb1ELb1ELb1ELi0EEEEENS4_5KargsEEEvT0_: ; @_ZN5aiter22opus_moe_sorting_entryINS_16MoeSortingKernelINS_19MoeSortingProblemExIifLi4ELb1ELb1ELb1ELb1ELi0EEEEENS4_5KargsEEEvT0_
; %bb.0:
	s_load_dwordx16 s[16:31], s[4:5], 0x0
	s_load_dwordx4 s[12:15], s[4:5], 0x40
	s_load_dwordx4 s[44:47], s[4:5], 0x54
	s_cmp_eq_u32 s6, 0
	s_waitcnt lgkmcnt(0)
	s_load_dword s33, s[22:23], 0x0
	s_cbranch_scc1 .LBB2_7
; %bb.1:
	s_cmp_eq_u64 s[12:13], 0
	s_mov_b64 s[2:3], 0
	s_cbranch_scc1 .LBB2_6
; %bb.2:
	s_waitcnt lgkmcnt(0)
	s_ashr_i32 s0, s33, 31
	s_mul_i32 s7, s46, s45
	s_mul_hi_i32 s1, s46, s45
	s_mul_i32 s0, s7, s0
	s_mul_hi_u32 s8, s7, s33
	s_add_i32 s0, s8, s0
	s_mul_i32 s1, s1, s33
	s_add_i32 s1, s0, s1
	s_mul_i32 s0, s7, s33
	s_ashr_i32 s7, s1, 31
	s_lshr_b32 s8, s7, 28
	s_add_u32 s0, s0, s8
	s_addc_u32 s1, s1, 0
	v_lshl_add_u32 v1, s6, 8, v0
	s_ashr_i64 s[8:9], s[0:1], 4
	v_add_u32_e32 v2, 0xffffff00, v1
	v_mov_b32_e32 v3, 0
	s_mov_b32 s7, 0
	v_cmp_gt_i64_e32 vcc, s[8:9], v[2:3]
	s_and_saveexec_b64 s[10:11], vcc
	s_cbranch_execz .LBB2_5
; %bb.3:
	s_load_dword s0, s[4:5], 0x90
	v_lshlrev_b64 v[4:5], 4, v[2:3]
	v_mov_b32_e32 v1, s13
	v_add_co_u32_e32 v8, vcc, s12, v4
	s_waitcnt lgkmcnt(0)
	s_lshl_b32 s0, s0, 8
	s_add_i32 s6, s0, 0xffffff00
	s_lshl_b64 s[12:13], s[6:7], 4
	v_pk_mov_b32 v[6:7], v[2:3], v[2:3] op_sel:[0,1]
	v_addc_co_u32_e32 v9, vcc, v1, v5, vcc
	s_mov_b64 s[22:23], 0
	v_mov_b32_e32 v2, v3
	v_mov_b32_e32 v4, v3
	;; [unrolled: 1-line block ×5, first 2 shown]
.LBB2_4:                                ; =>This Inner Loop Header: Depth=1
	v_add_co_u32_e32 v6, vcc, s6, v6
	v_addc_co_u32_e32 v7, vcc, v7, v1, vcc
	global_store_dwordx4 v[8:9], v[2:5], off
	v_add_co_u32_e32 v8, vcc, s12, v8
	v_cmp_le_i64_e64 s[0:1], s[8:9], v[6:7]
	s_or_b64 s[22:23], s[0:1], s[22:23]
	v_addc_co_u32_e32 v9, vcc, v9, v10, vcc
	s_andn2_b64 exec, exec, s[22:23]
	s_cbranch_execnz .LBB2_4
.LBB2_5:
	s_or_b64 exec, exec, s[10:11]
.LBB2_6:
	s_andn2_b64 vcc, exec, s[2:3]
	s_cbranch_vccz .LBB2_8
	s_branch .LBB2_96
.LBB2_7:
.LBB2_8:
	s_load_dwordx8 s[36:43], s[4:5], 0x64
	s_load_dwordx2 s[0:1], s[4:5], 0x84
	v_lshrrev_b32_e32 v1, 6, v0
	v_readfirstlane_b32 s47, v1
	s_add_i32 s12, s44, 1
	s_waitcnt lgkmcnt(0)
	s_add_i32 s45, s36, -2
	s_mul_i32 s10, s45, s44
	v_cmp_gt_i32_e32 vcc, s10, v0
	s_and_saveexec_b64 s[2:3], vcc
	s_cbranch_execz .LBB2_18
; %bb.9:
	v_xad_u32 v2, v0, -1, s10
	s_movk_i32 s6, 0xff
	s_mov_b32 s5, 0
	s_mov_b32 s4, s0
	s_sub_i32 s0, s12, s43
	v_cmp_lt_u32_e32 vcc, s6, v2
	s_mov_b64 s[8:9], 0
                                        ; implicit-def: $vgpr1
                                        ; implicit-def: $sgpr11
	s_and_saveexec_b64 s[6:7], vcc
	s_xor_b64 s[6:7], exec, s[6:7]
	s_cbranch_execnz .LBB2_12
; %bb.10:
	s_or_saveexec_b64 s[6:7], s[6:7]
	v_mov_b32_e32 v2, s11
	s_xor_b64 exec, exec, s[6:7]
	s_cbranch_execnz .LBB2_15
.LBB2_11:
	s_or_b64 exec, exec, s[6:7]
	s_and_b64 exec, exec, s[8:9]
	s_cbranch_execnz .LBB2_16
	s_branch .LBB2_18
.LBB2_12:
	v_lshrrev_b32_e32 v1, 8, v2
	v_add_u32_e32 v4, 1, v1
	s_lshl_b32 s11, s44, 3
	v_and_b32_e32 v5, 0x1fffffe, v4
	v_add_u32_e32 v1, 0x100, v0
	s_add_i32 s8, s11, 0
	s_mov_b32 s13, s4
	s_mov_b32 s22, s1
	;; [unrolled: 1-line block ×3, first 2 shown]
	v_lshl_add_u32 v6, v0, 2, s8
	s_mov_b64 s[8:9], 0
	v_mov_b32_e32 v7, 0
	v_mov_b32_e32 v8, v5
	v_pk_mov_b32 v[2:3], v[0:1], v[0:1] op_sel:[0,1]
.LBB2_13:                               ; =>This Inner Loop Header: Depth=1
	v_mul_hi_u32 v1, s4, v2
	v_mul_hi_u32 v9, s13, v3
	v_add_u32_e32 v9, v3, v9
	v_add_u32_e32 v1, v2, v1
	v_add_u32_e32 v8, -2, v8
	v_lshrrev_b32_e32 v1, s22, v1
	v_lshrrev_b32_e32 v9, s1, v9
	v_cmp_eq_u32_e32 vcc, 0, v8
	v_mul_lo_u32 v9, v9, s23
	v_mul_lo_u32 v1, v1, s0
	v_add_u32_e32 v3, 0x200, v3
	v_add_u32_e32 v2, 0x200, v2
	s_or_b64 s[8:9], vcc, s[8:9]
	v_lshl_add_u32 v1, v1, 2, v6
	v_lshl_add_u32 v9, v9, 2, v6
	v_add_u32_e32 v6, 0x800, v6
	ds_write_b32 v1, v7 offset:8
	ds_write_b32 v9, v7 offset:1032
	s_andn2_b64 exec, exec, s[8:9]
	s_cbranch_execnz .LBB2_13
; %bb.14:
	s_or_b64 exec, exec, s[8:9]
	v_cmp_ne_u32_e32 vcc, v4, v5
	v_lshl_add_u32 v1, v5, 8, v0
	s_and_b64 s[8:9], vcc, exec
	s_or_saveexec_b64 s[6:7], s[6:7]
	v_mov_b32_e32 v2, s11
	s_xor_b64 exec, exec, s[6:7]
	s_cbranch_execz .LBB2_11
.LBB2_15:
	s_lshl_b32 s11, s44, 3
	v_mov_b32_e32 v2, s11
	s_or_b64 s[8:9], s[8:9], exec
	v_mov_b32_e32 v1, v0
	s_or_b64 exec, exec, s[6:7]
	s_and_b64 exec, exec, s[8:9]
	s_cbranch_execz .LBB2_18
.LBB2_16:
	v_lshl_add_u32 v2, v1, 2, v2
	v_mad_u64_u32 v[4:5], s[6:7], v1, s4, 0
	s_lshl_b64 s[4:5], s[4:5], 8
	s_lshl_b32 s0, s0, 2
	v_add3_u32 v2, v2, 0, 8
	s_mov_b64 s[6:7], 0
	v_mov_b32_e32 v3, 0
	v_mov_b32_e32 v6, s5
.LBB2_17:                               ; =>This Inner Loop Header: Depth=1
	v_add_co_u32_e32 v4, vcc, s4, v4
	v_add_u32_e32 v7, v1, v5
	v_add_u32_e32 v1, 0x100, v1
	v_addc_co_u32_e32 v5, vcc, v5, v6, vcc
	v_lshrrev_b32_e32 v7, s1, v7
	v_cmp_le_i32_e32 vcc, s10, v1
	v_mad_u64_u32 v[8:9], s[8:9], s0, v7, v[2:3]
	v_add_u32_e32 v2, 0x400, v2
	s_or_b64 s[6:7], vcc, s[6:7]
	ds_write_b32 v8, v3
	s_andn2_b64 exec, exec, s[6:7]
	s_cbranch_execnz .LBB2_17
.LBB2_18:
	s_or_b64 exec, exec, s[2:3]
	s_cmp_gt_i32 s33, 0
	s_mov_b32 s3, 0
	s_cselect_b64 s[22:23], -1, 0
	s_cmp_lt_i32 s33, 1
	s_mul_i32 s46, s40, s45
	s_waitcnt lgkmcnt(0)
	s_barrier
	s_cbranch_scc1 .LBB2_26
; %bb.19:
	s_lshl_b32 s0, s12, 3
	s_mov_b32 s2, s41
	s_add_i32 s13, s0, 0
	v_cmp_gt_i32_e32 vcc, s46, v0
	s_sub_i32 s34, 0, s40
	v_mad_u64_u32 v[2:3], s[0:1], v0, s41, 0
	s_lshl_b64 s[4:5], s[2:3], 8
	v_mov_b32_e32 v5, 0
	s_mov_b32 s2, 0
	s_branch .LBB2_21
.LBB2_20:                               ;   in Loop: Header=BB2_21 Depth=1
	s_or_b64 exec, exec, s[6:7]
	s_add_i32 s2, s2, s45
	s_add_i32 s3, s3, s46
	s_cmp_ge_i32 s2, s33
	s_barrier
	s_cbranch_scc1 .LBB2_26
.LBB2_21:                               ; =>This Loop Header: Depth=1
                                        ;     Child Loop BB2_24 Depth 2
	s_and_saveexec_b64 s[6:7], vcc
	s_cbranch_execz .LBB2_20
; %bb.22:                               ;   in Loop: Header=BB2_21 Depth=1
	s_mov_b64 s[8:9], 0
	v_pk_mov_b32 v[6:7], v[2:3], v[2:3] op_sel:[0,1]
	v_mov_b32_e32 v1, v0
	s_branch .LBB2_24
.LBB2_23:                               ;   in Loop: Header=BB2_24 Depth=2
	s_or_b64 exec, exec, s[10:11]
	v_add_u32_e32 v1, 0x100, v1
	v_cmp_le_i32_e64 s[0:1], s46, v1
	v_mov_b32_e32 v4, s5
	s_or_b64 s[8:9], s[0:1], s[8:9]
	v_add_co_u32_e64 v6, s[0:1], s4, v6
	v_addc_co_u32_e64 v7, s[0:1], v7, v4, s[0:1]
	s_waitcnt lgkmcnt(0)
	s_andn2_b64 exec, exec, s[8:9]
	s_cbranch_execz .LBB2_20
.LBB2_24:                               ;   Parent Loop BB2_21 Depth=1
                                        ; =>  This Inner Loop Header: Depth=2
	v_add_u32_e32 v4, v1, v7
	v_lshrrev_b32_e32 v8, s42, v4
	v_add_u32_e32 v4, s2, v8
	v_cmp_gt_i32_e64 s[0:1], s33, v4
	s_and_saveexec_b64 s[10:11], s[0:1]
	s_cbranch_execz .LBB2_23
; %bb.25:                               ;   in Loop: Header=BB2_24 Depth=2
	v_add_u32_e32 v4, s3, v1
	v_lshlrev_b64 v[10:11], 2, v[4:5]
	v_mov_b32_e32 v4, s17
	v_add_co_u32_e64 v10, s[0:1], s16, v10
	v_addc_co_u32_e64 v11, s[0:1], v4, v11, s[0:1]
	global_load_dword v4, v[10:11], off
	v_mul_lo_u32 v9, s34, v8
	v_mul_lo_u32 v8, v8, s12
	v_lshlrev_b32_e32 v8, 2, v8
	v_add3_u32 v9, v1, v9, 1
	s_waitcnt vmcnt(0)
	v_lshlrev_b32_e32 v4, 2, v4
	v_add3_u32 v4, s13, v4, v8
	ds_write_b32 v4, v9
	s_branch .LBB2_23
.LBB2_26:
	v_cmp_eq_u32_e32 vcc, 0, v0
	s_and_saveexec_b64 s[0:1], vcc
	s_cbranch_execz .LBB2_28
; %bb.27:
	v_mov_b32_e32 v1, 0
	ds_write_b32 v1, v1
.LBB2_28:
	s_or_b64 exec, exec, s[0:1]
	v_mbcnt_lo_u32_b32 v1, -1, 0
	v_and_b32_e32 v9, 7, v0
	v_mbcnt_hi_u32_b32 v12, -1, v1
	v_lshrrev_b32_e32 v8, 3, v0
	v_mul_lo_u32 v1, s12, v9
	v_cmp_gt_i32_e64 s[0:1], s44, v8
	v_lshlrev_b32_e32 v10, 2, v8
	v_lshlrev_b32_e32 v11, 2, v1
	s_and_saveexec_b64 s[34:35], s[0:1]
	s_cbranch_execz .LBB2_36
; %bb.29:
	s_cmp_gt_i32 s36, 2
	s_mul_i32 s6, s44, 0x68
	s_cselect_b64 s[4:5], -1, 0
	s_add_i32 s6, s6, 0
	v_add_u32_e32 v4, s6, v11
	s_mul_i32 s6, s44, 0x48
	s_add_i32 s6, s6, 0
	v_add_u32_e32 v5, s6, v11
	s_mul_i32 s6, s44, 40
	s_add_i32 s6, s6, 0
	v_add3_u32 v6, s6, v11, 40
	s_lshl_b32 s6, s44, 3
	v_lshlrev_b32_e32 v3, 2, v12
	s_lshl_b32 s36, s44, 7
	s_add_i32 s6, s6, 0
	v_cndmask_b32_e64 v13, 0, 1, s[4:5]
	v_xor_b32_e32 v1, 4, v3
	v_xor_b32_e32 v2, 8, v3
	;; [unrolled: 1-line block ×3, first 2 shown]
	v_cmp_eq_u32_e64 s[2:3], 0, v9
	v_add_u32_e32 v4, 0x68, v4
	s_addk_i32 s36, 0x80
	v_add_u32_e32 v5, 0x48, v5
	v_add3_u32 v7, s6, v11, 8
	s_mov_b64 s[42:43], 0
	v_cmp_ne_u32_e64 s[4:5], 1, v13
	v_mov_b32_e32 v13, v8
	s_branch .LBB2_31
.LBB2_30:                               ;   in Loop: Header=BB2_31 Depth=1
	s_or_b64 exec, exec, s[6:7]
	v_add_u32_e32 v13, 32, v13
	v_cmp_le_i32_e32 vcc, s44, v13
	v_add_u32_e32 v4, 0x80, v4
	v_add_u32_e32 v5, 0x80, v5
	v_add_u32_e32 v6, 0x80, v6
	s_or_b64 s[42:43], vcc, s[42:43]
	v_add_u32_e32 v7, 0x80, v7
	s_andn2_b64 exec, exec, s[42:43]
	s_cbranch_execz .LBB2_36
.LBB2_31:                               ; =>This Loop Header: Depth=1
                                        ;     Child Loop BB2_33 Depth 2
	s_and_b64 vcc, exec, s[4:5]
	v_mov_b32_e32 v14, 0
	s_cbranch_vccnz .LBB2_34
; %bb.32:                               ;   in Loop: Header=BB2_31 Depth=1
	s_mov_b32 s41, 0
	v_mov_b32_e32 v14, 0
	v_mov_b32_e32 v15, v7
	;; [unrolled: 1-line block ×5, first 2 shown]
.LBB2_33:                               ;   Parent Loop BB2_31 Depth=1
                                        ; =>  This Inner Loop Header: Depth=2
	v_add_u32_e32 v19, v15, v10
	v_add_u32_e32 v20, v16, v10
	;; [unrolled: 1-line block ×4, first 2 shown]
	ds_read_b32 v19, v19
	ds_read_b32 v20, v20
	;; [unrolled: 1-line block ×4, first 2 shown]
	s_add_i32 s41, s41, 32
	s_waitcnt lgkmcnt(3)
	v_cmp_ne_u32_e32 vcc, 0, v19
	v_cndmask_b32_e64 v19, 0, 1, vcc
	s_waitcnt lgkmcnt(2)
	v_cmp_ne_u32_e64 s[6:7], 0, v20
	v_cndmask_b32_e64 v20, 0, 1, s[6:7]
	s_waitcnt lgkmcnt(1)
	v_cmp_ne_u32_e64 s[8:9], 0, v21
	ds_bpermute_b32 v19, v1, v19
	v_cndmask_b32_e64 v21, 0, 1, s[8:9]
	s_waitcnt lgkmcnt(1)
	v_cmp_ne_u32_e64 s[10:11], 0, v22
	ds_bpermute_b32 v20, v1, v20
	v_cndmask_b32_e64 v22, 0, 1, s[10:11]
	ds_bpermute_b32 v21, v1, v21
	ds_bpermute_b32 v22, v1, v22
	s_waitcnt lgkmcnt(3)
	v_addc_co_u32_e64 v23, s[12:13], 0, v19, vcc
	s_waitcnt lgkmcnt(2)
	v_addc_co_u32_e64 v24, s[12:13], 0, v20, s[6:7]
	ds_bpermute_b32 v23, v2, v23
	s_waitcnt lgkmcnt(2)
	v_addc_co_u32_e64 v25, s[12:13], 0, v21, s[8:9]
	ds_bpermute_b32 v24, v2, v24
	;; [unrolled: 3-line block ×3, first 2 shown]
	ds_bpermute_b32 v26, v2, v26
	s_waitcnt lgkmcnt(3)
	v_addc_co_u32_e32 v19, vcc, v23, v19, vcc
	s_waitcnt lgkmcnt(2)
	v_addc_co_u32_e64 v20, vcc, v24, v20, s[6:7]
	ds_bpermute_b32 v23, v3, v19
	s_waitcnt lgkmcnt(2)
	v_addc_co_u32_e64 v21, vcc, v25, v21, s[8:9]
	ds_bpermute_b32 v24, v3, v20
	;; [unrolled: 3-line block ×3, first 2 shown]
	ds_bpermute_b32 v26, v3, v22
	s_waitcnt lgkmcnt(3)
	v_add3_u32 v14, v19, v14, v23
	s_waitcnt lgkmcnt(2)
	v_add3_u32 v14, v14, v20, v24
	v_add_u32_e32 v18, s36, v18
	s_waitcnt lgkmcnt(1)
	v_add3_u32 v14, v14, v21, v25
	v_add_u32_e32 v17, s36, v17
	v_add_u32_e32 v16, s36, v16
	;; [unrolled: 1-line block ×3, first 2 shown]
	s_cmp_lt_i32 s41, s45
	s_waitcnt lgkmcnt(0)
	v_add3_u32 v14, v14, v22, v26
	s_cbranch_scc1 .LBB2_33
.LBB2_34:                               ;   in Loop: Header=BB2_31 Depth=1
	s_and_saveexec_b64 s[6:7], s[2:3]
	s_cbranch_execz .LBB2_30
; %bb.35:                               ;   in Loop: Header=BB2_31 Depth=1
	v_lshl_add_u32 v15, v13, 2, 0
	ds_write_b32 v15, v14 offset:4
	s_branch .LBB2_30
.LBB2_36:
	s_or_b64 exec, exec, s[34:35]
	s_lshl_b32 s12, s44, 2
	s_add_i32 s13, s12, 0
	v_mov_b32_e32 v1, 0
	v_mov_b32_e32 v2, s13
	v_cmp_gt_i32_e64 s[2:3], s44, v0
	ds_write_b32 v2, v1 offset:4
	s_and_saveexec_b64 s[4:5], s[2:3]
	s_cbranch_execz .LBB2_46
; %bb.37:
	v_xad_u32 v1, v0, -1, s44
	s_movk_i32 s6, 0xff
	v_cmp_lt_u32_e32 vcc, s6, v1
	s_mov_b64 s[8:9], 0
                                        ; implicit-def: $vgpr2
	s_and_saveexec_b64 s[6:7], vcc
	s_xor_b64 s[6:7], exec, s[6:7]
	s_cbranch_execnz .LBB2_40
; %bb.38:
	s_or_saveexec_b64 s[6:7], s[6:7]
	v_mov_b32_e32 v1, s12
	s_xor_b64 exec, exec, s[6:7]
	s_cbranch_execnz .LBB2_43
.LBB2_39:
	s_or_b64 exec, exec, s[6:7]
	s_and_b64 exec, exec, s[8:9]
	s_cbranch_execnz .LBB2_44
	s_branch .LBB2_46
.LBB2_40:
	v_lshrrev_b32_e32 v1, 8, v1
	v_add_u32_e32 v6, 1, v1
	v_and_b32_e32 v7, 0x1fffffe, v6
	v_add_u32_e32 v1, 0x100, v0
	v_lshlrev_b32_e32 v2, 2, v0
	v_add3_u32 v13, s13, v2, 8
	v_mov_b32_e32 v14, s21
	v_mov_b32_e32 v3, 0
	;; [unrolled: 1-line block ×3, first 2 shown]
	v_pk_mov_b32 v[4:5], v[0:1], v[0:1] op_sel:[0,1]
.LBB2_41:                               ; =>This Inner Loop Header: Depth=1
	v_mov_b32_e32 v2, v4
	v_lshlrev_b64 v[16:17], 2, v[2:3]
	v_mov_b32_e32 v2, v5
	v_add_co_u32_e32 v16, vcc, s20, v16
	v_addc_co_u32_e32 v17, vcc, v14, v17, vcc
	v_lshlrev_b64 v[18:19], 2, v[2:3]
	v_add_co_u32_e32 v18, vcc, s20, v18
	v_addc_co_u32_e32 v19, vcc, v14, v19, vcc
	global_load_dword v1, v[16:17], off
	global_load_dword v2, v[18:19], off
	v_add_u32_e32 v15, -2, v15
	v_cmp_eq_u32_e32 vcc, 0, v15
	v_add_u32_e32 v4, 0x200, v4
	v_add_u32_e32 v5, 0x200, v5
	s_or_b64 s[8:9], vcc, s[8:9]
	s_waitcnt vmcnt(0)
	ds_write2st64_b32 v13, v1, v2 offset1:4
	v_add_u32_e32 v13, 0x800, v13
	s_andn2_b64 exec, exec, s[8:9]
	s_cbranch_execnz .LBB2_41
; %bb.42:
	s_or_b64 exec, exec, s[8:9]
	v_cmp_ne_u32_e32 vcc, v6, v7
	v_lshl_add_u32 v2, v7, 8, v0
	s_and_b64 s[8:9], vcc, exec
	s_or_saveexec_b64 s[6:7], s[6:7]
	v_mov_b32_e32 v1, s12
	s_xor_b64 exec, exec, s[6:7]
	s_cbranch_execz .LBB2_39
.LBB2_43:
	v_mov_b32_e32 v1, s12
	s_or_b64 s[8:9], s[8:9], exec
	v_mov_b32_e32 v2, v0
	s_or_b64 exec, exec, s[6:7]
	s_and_b64 exec, exec, s[8:9]
	s_cbranch_execz .LBB2_46
.LBB2_44:
	v_mov_b32_e32 v3, 0
	v_lshlrev_b64 v[4:5], 2, v[2:3]
	v_lshl_add_u32 v1, v2, 2, v1
	v_mov_b32_e32 v3, s21
	v_add_co_u32_e32 v4, vcc, s20, v4
	v_add3_u32 v1, v1, 0, 8
	v_addc_co_u32_e32 v5, vcc, v3, v5, vcc
	s_mov_b64 s[6:7], 0
.LBB2_45:                               ; =>This Inner Loop Header: Depth=1
	global_load_dword v3, v[4:5], off
	v_add_co_u32_e32 v4, vcc, 0x400, v4
	v_add_u32_e32 v2, 0x100, v2
	v_addc_co_u32_e32 v5, vcc, 0, v5, vcc
	v_cmp_le_i32_e32 vcc, s44, v2
	s_or_b64 s[6:7], vcc, s[6:7]
	s_waitcnt vmcnt(0)
	ds_write_b32 v1, v3
	v_add_u32_e32 v1, 0x400, v1
	s_andn2_b64 exec, exec, s[6:7]
	s_cbranch_execnz .LBB2_45
.LBB2_46:
	s_or_b64 exec, exec, s[4:5]
	s_add_i32 s34, s13, 4
	s_cmp_lg_u32 s47, 0
	s_waitcnt lgkmcnt(0)
	s_barrier
	s_cbranch_scc1 .LBB2_57
; %bb.47:
	s_mov_b32 s35, 0
	s_cmp_lt_i32 s44, 1
	v_mov_b32_e32 v2, 0
	s_cbranch_scc1 .LBB2_54
; %bb.48:
	v_lshlrev_b32_e32 v2, 2, v12
	v_and_b32_e32 v3, 0xc0, v2
	v_cmp_eq_u32_e32 vcc, 0, v12
	s_add_i32 s36, s37, -1
	v_add_u32_e32 v1, -4, v3
	v_cmp_lt_u32_e64 s[4:5], 15, v12
	v_add_u32_e32 v3, 0xffffffbc, v3
	v_cmp_lt_u32_e64 s[6:7], 31, v12
	v_add_u32_e32 v4, 0, v2
	s_branch .LBB2_50
.LBB2_49:                               ;   in Loop: Header=BB2_50 Depth=1
	s_or_b64 exec, exec, s[10:11]
	s_add_i32 s35, s35, 64
	s_cmp_lt_i32 s35, s44
	v_add_u32_e32 v4, 0x100, v4
	s_waitcnt lgkmcnt(0)
	s_cbranch_scc0 .LBB2_54
.LBB2_50:                               ; =>This Inner Loop Header: Depth=1
	ds_read_b32 v7, v4 offset:4
	v_mov_b32_e32 v2, s35
	v_add_u32_e32 v5, s12, v4
	ds_read_b32 v6, v5 offset:8
	v_cndmask_b32_e32 v2, 0, v2, vcc
	s_waitcnt lgkmcnt(1)
	v_add_u32_e32 v7, s36, v7
	v_lshlrev_b32_e32 v2, 2, v2
	v_mul_hi_u32 v14, v7, s38
	v_add_u32_e32 v13, 0, v2
	v_add_u32_e32 v7, v7, v14
	v_lshrrev_b32_e32 v14, s39, v7
	v_add_u32_e32 v2, s34, v2
	ds_read_b32 v13, v13
	ds_read_b32 v7, v2
	v_mul_lo_u32 v2, v14, s37
	s_waitcnt lgkmcnt(2)
	v_cmp_ne_u32_e64 s[8:9], 0, v6
	v_cndmask_b32_e64 v2, 0, v2, s[8:9]
	s_waitcnt lgkmcnt(1)
	v_add_u32_e32 v2, v2, v13
	v_add_u32_e32 v14, s35, v12
	v_cmp_gt_i32_e64 s[8:9], s44, v14
	v_add_u32_dpp v2, v2, v2 row_shr:1 row_mask:0xf bank_mask:0xf bound_ctrl:1
	s_nop 1
	v_add_u32_dpp v2, v2, v2 row_shr:2 row_mask:0xf bank_mask:0xf bound_ctrl:1
	s_nop 1
	;; [unrolled: 2-line block ×3, first 2 shown]
	v_add_u32_dpp v2, v2, v2 row_shr:8 row_mask:0xf bank_mask:0xf bound_ctrl:1
	ds_bpermute_b32 v13, v1, v2
	s_waitcnt lgkmcnt(0)
	v_cndmask_b32_e64 v13, 0, v13, s[4:5]
	v_add_u32_e32 v2, v2, v13
	ds_bpermute_b32 v13, v3, v2
	s_waitcnt lgkmcnt(0)
	v_cndmask_b32_e64 v13, 0, v13, s[6:7]
	v_add_u32_e32 v2, v2, v13
	s_and_saveexec_b64 s[10:11], s[8:9]
	s_cbranch_execz .LBB2_52
; %bb.51:                               ;   in Loop: Header=BB2_50 Depth=1
	ds_write_b32 v4, v2 offset:4
.LBB2_52:                               ;   in Loop: Header=BB2_50 Depth=1
	s_or_b64 exec, exec, s[10:11]
	v_add_u32_e32 v6, v6, v7
	s_nop 1
	v_add_u32_dpp v6, v6, v6 row_shr:1 row_mask:0xf bank_mask:0xf bound_ctrl:1
	s_nop 1
	v_add_u32_dpp v6, v6, v6 row_shr:2 row_mask:0xf bank_mask:0xf bound_ctrl:1
	;; [unrolled: 2-line block ×4, first 2 shown]
	ds_bpermute_b32 v7, v1, v6
	s_waitcnt lgkmcnt(0)
	v_cndmask_b32_e64 v7, 0, v7, s[4:5]
	v_add_u32_e32 v6, v7, v6
	ds_bpermute_b32 v7, v3, v6
	s_and_saveexec_b64 s[10:11], s[8:9]
	s_cbranch_execz .LBB2_49
; %bb.53:                               ;   in Loop: Header=BB2_50 Depth=1
	s_waitcnt lgkmcnt(0)
	v_cndmask_b32_e64 v7, 0, v7, s[6:7]
	v_add_u32_e32 v6, v7, v6
	ds_write_b32 v5, v6 offset:8
	s_branch .LBB2_49
.LBB2_54:
	v_add_u32_e32 v1, s35, v12
	v_subrev_u32_e32 v1, 63, v1
	v_cmp_eq_u32_e32 vcc, s44, v1
	s_and_saveexec_b64 s[4:5], vcc
	s_cbranch_execz .LBB2_56
; %bb.55:
	v_mov_b32_e32 v1, 0
	v_mov_b32_e32 v3, s33
	global_store_dwordx2 v1, v[2:3], s[30:31]
.LBB2_56:
	s_or_b64 exec, exec, s[4:5]
.LBB2_57:
	s_cmp_eq_u64 s[14:15], 0
	s_barrier
	s_cbranch_scc1 .LBB2_64
; %bb.58:
	s_mul_i32 s10, s33, s40
	v_cmp_gt_i32_e32 vcc, s10, v0
	s_and_saveexec_b64 s[6:7], vcc
	s_cbranch_execz .LBB2_63
; %bb.59:
	v_lshlrev_b32_e32 v1, 2, v0
	v_mov_b32_e32 v3, s17
	v_add_co_u32_e32 v2, vcc, s16, v1
	v_addc_co_u32_e32 v3, vcc, 0, v3, vcc
	v_mov_b32_e32 v5, s15
	v_add_co_u32_e32 v4, vcc, s14, v1
	v_addc_co_u32_e32 v5, vcc, 0, v5, vcc
	s_mov_b64 s[8:9], 0
	v_mov_b32_e32 v1, s21
	v_mov_b32_e32 v13, v0
	s_branch .LBB2_61
.LBB2_60:                               ;   in Loop: Header=BB2_61 Depth=1
	s_or_b64 exec, exec, s[4:5]
	v_add_co_u32_e32 v2, vcc, 0x400, v2
	v_add_u32_e32 v13, 0x100, v13
	v_addc_co_u32_e32 v3, vcc, 0, v3, vcc
	s_waitcnt lgkmcnt(0)
	global_store_dword v[4:5], v7, off
	v_add_co_u32_e32 v4, vcc, 0x400, v4
	v_cmp_le_i32_e64 s[4:5], s10, v13
	s_or_b64 s[8:9], s[4:5], s[8:9]
	v_addc_co_u32_e32 v5, vcc, 0, v5, vcc
	s_andn2_b64 exec, exec, s[8:9]
	s_cbranch_execz .LBB2_63
.LBB2_61:                               ; =>This Inner Loop Header: Depth=1
	global_load_dword v6, v[2:3], off
	s_waitcnt vmcnt(0)
	v_ashrrev_i32_e32 v7, 31, v6
	v_lshlrev_b64 v[14:15], 2, v[6:7]
	v_add_co_u32_e32 v14, vcc, s20, v14
	v_addc_co_u32_e32 v15, vcc, v1, v15, vcc
	global_load_dword v7, v[14:15], off
	s_waitcnt vmcnt(0)
	v_cmp_ne_u32_e32 vcc, 0, v7
	v_mov_b32_e32 v7, -1
	s_and_saveexec_b64 s[4:5], vcc
	s_cbranch_execz .LBB2_60
; %bb.62:                               ;   in Loop: Header=BB2_61 Depth=1
	v_lshl_add_u32 v6, v6, 2, s34
	ds_read_b32 v7, v6
	s_branch .LBB2_60
.LBB2_63:
	s_or_b64 exec, exec, s[6:7]
	s_barrier
.LBB2_64:
	s_and_saveexec_b64 s[6:7], s[2:3]
	s_cbranch_execz .LBB2_71
; %bb.65:
	s_mov_b64 s[8:9], 0
	v_mov_b32_e32 v3, 0
	v_mov_b32_e32 v4, v0
	s_branch .LBB2_67
.LBB2_66:                               ;   in Loop: Header=BB2_67 Depth=1
	s_or_b64 exec, exec, s[10:11]
	v_add_u32_e32 v4, 0x100, v4
	v_cmp_le_i32_e32 vcc, s44, v4
	s_or_b64 s[8:9], vcc, s[8:9]
	s_andn2_b64 exec, exec, s[8:9]
	s_cbranch_execz .LBB2_71
.LBB2_67:                               ; =>This Loop Header: Depth=1
                                        ;     Child Loop BB2_70 Depth 2
	s_waitcnt lgkmcnt(1)
	v_lshlrev_b32_e32 v1, 2, v4
	v_add_u32_e32 v2, 0, v1
	ds_read2_b32 v[6:7], v2 offset1:1
	v_add_u32_e32 v2, s34, v1
	ds_read_b32 v1, v2
	s_waitcnt lgkmcnt(1)
	v_cmp_ne_u32_e32 vcc, v6, v7
	ds_write_b32 v2, v6
	s_and_saveexec_b64 s[10:11], vcc
	s_cbranch_execz .LBB2_66
; %bb.68:                               ;   in Loop: Header=BB2_67 Depth=1
	v_mov_b32_e32 v5, v3
	v_lshlrev_b64 v[14:15], 2, v[4:5]
	v_mov_b32_e32 v2, s21
	v_add_co_u32_e32 v14, vcc, s20, v14
	v_addc_co_u32_e32 v15, vcc, v2, v15, vcc
	global_load_dword v2, v[14:15], off
	v_cmp_lt_i32_e64 s[4:5], v6, v7
	s_waitcnt vmcnt(0)
	v_cmp_ne_u32_e32 vcc, 0, v2
	s_and_b64 s[4:5], s[4:5], vcc
	s_and_b64 exec, exec, s[4:5]
	s_cbranch_execz .LBB2_66
; %bb.69:                               ;   in Loop: Header=BB2_67 Depth=1
	s_mov_b64 s[4:5], 0
.LBB2_70:                               ;   Parent Loop BB2_67 Depth=1
                                        ; =>  This Inner Loop Header: Depth=2
	v_mul_hi_u32 v2, s38, v6
	v_add_u32_e32 v2, v6, v2
	v_add_u32_e32 v6, s37, v6
	v_lshrrev_b32_e32 v2, s39, v2
	v_cmp_ge_i32_e32 vcc, v6, v7
	v_lshlrev_b64 v[14:15], 2, v[2:3]
	v_mov_b32_e32 v5, s29
	s_or_b64 s[4:5], vcc, s[4:5]
	v_add_co_u32_e32 v14, vcc, s28, v14
	v_addc_co_u32_e32 v15, vcc, v5, v15, vcc
	s_waitcnt lgkmcnt(1)
	global_store_dword v[14:15], v1, off
	s_andn2_b64 exec, exec, s[4:5]
	s_cbranch_execnz .LBB2_70
	s_branch .LBB2_66
.LBB2_71:
	s_or_b64 exec, exec, s[6:7]
	s_waitcnt lgkmcnt(1)
	v_mov_b32_e32 v1, s13
	s_waitcnt lgkmcnt(0)
	s_barrier
	ds_read_b32 v1, v1
	s_add_i32 s4, s13, s12
	v_mov_b32_e32 v2, s4
	s_andn2_b64 vcc, exec, s[22:23]
	s_waitcnt lgkmcnt(0)
	ds_write_b32 v2, v1 offset:4
	s_cbranch_vccnz .LBB2_85
; %bb.72:
	s_add_u32 s23, s24, -4
	s_addc_u32 s28, s25, -1
	s_add_u32 s29, s18, -4
	s_addc_u32 s30, s19, -1
	;; [unrolled: 2-line block ×3, first 2 shown]
	s_lshl_b32 s6, s44, 3
	v_and_b32_e32 v1, 8, v12
	v_add3_u32 v2, v11, s6, v10
	s_lshl_b32 s37, s44, 5
	v_cmp_gt_i32_e32 vcc, s45, v9
	s_mov_b32 s22, 0
	v_cmp_eq_u32_e64 s[4:5], 0, v1
	v_lshl_or_b32 v1, v0, 2, 28
	v_mul_lo_u32 v4, s40, v9
	s_lshl_b32 s36, s40, 3
	v_add3_u32 v5, v2, 0, 8
	s_add_i32 s37, s37, 32
	v_mov_b32_e32 v3, 0
	s_mov_b32 s38, 0x4020100
	s_branch .LBB2_74
.LBB2_73:                               ;   in Loop: Header=BB2_74 Depth=1
	s_or_b64 exec, exec, s[10:11]
	s_add_i32 s22, s22, s45
	s_cmp_ge_i32 s22, s33
	v_add_u32_e32 v4, s46, v4
	s_waitcnt lgkmcnt(0)
	s_barrier
	s_cbranch_scc1 .LBB2_85
.LBB2_74:                               ; =>This Loop Header: Depth=1
                                        ;     Child Loop BB2_79 Depth 2
                                        ;       Child Loop BB2_83 Depth 3
	s_and_saveexec_b64 s[10:11], s[0:1]
	s_cbranch_execz .LBB2_73
; %bb.75:                               ;   in Loop: Header=BB2_74 Depth=1
	s_mov_b64 s[12:13], 0
	v_mov_b32_e32 v6, v5
	v_mov_b32_e32 v2, v8
	s_branch .LBB2_79
.LBB2_76:                               ;   in Loop: Header=BB2_79 Depth=2
	s_or_b64 exec, exec, s[18:19]
.LBB2_77:                               ;   in Loop: Header=BB2_79 Depth=2
	s_or_b64 exec, exec, s[16:17]
	s_waitcnt lgkmcnt(0)
	ds_write_b32 v7, v10
.LBB2_78:                               ;   in Loop: Header=BB2_79 Depth=2
	s_or_b64 exec, exec, s[14:15]
	v_add_u32_e32 v2, 32, v2
	v_cmp_le_i32_e64 s[6:7], s44, v2
	s_or_b64 s[12:13], s[6:7], s[12:13]
	v_add_u32_e32 v6, 0x80, v6
	s_andn2_b64 exec, exec, s[12:13]
	s_cbranch_execz .LBB2_73
.LBB2_79:                               ;   Parent Loop BB2_74 Depth=1
                                        ; =>  This Loop Header: Depth=2
                                        ;       Child Loop BB2_83 Depth 3
	v_lshlrev_b64 v[10:11], 2, v[2:3]
	v_mov_b32_e32 v7, s21
	v_add_co_u32_e64 v10, s[6:7], s20, v10
	v_addc_co_u32_e64 v11, s[6:7], v7, v11, s[6:7]
	global_load_dword v7, v[10:11], off
	s_waitcnt vmcnt(0)
	v_cmp_ne_u32_e64 s[6:7], 0, v7
	s_and_saveexec_b64 s[14:15], s[6:7]
	s_cbranch_execz .LBB2_78
; %bb.80:                               ;   in Loop: Header=BB2_79 Depth=2
	v_lshl_add_u32 v7, v2, 2, 0
	ds_read_b32 v10, v7
	s_and_saveexec_b64 s[16:17], vcc
	s_cbranch_execz .LBB2_77
; %bb.81:                               ;   in Loop: Header=BB2_79 Depth=2
	s_mov_b64 s[18:19], 0
	v_mov_b32_e32 v11, v6
	v_mov_b32_e32 v12, v4
	;; [unrolled: 1-line block ×3, first 2 shown]
	s_branch .LBB2_83
.LBB2_82:                               ;   in Loop: Header=BB2_83 Depth=3
	s_or_b64 exec, exec, s[8:9]
	ds_bpermute_b32 v14, v1, v14
	v_add_u32_e32 v13, 8, v13
	v_cmp_le_i32_e64 s[6:7], s45, v13
	v_add_u32_e32 v12, s36, v12
	s_or_b64 s[18:19], s[6:7], s[18:19]
	s_waitcnt lgkmcnt(0)
	v_add_u32_e32 v10, v14, v10
	v_add_u32_e32 v11, s37, v11
	s_andn2_b64 exec, exec, s[18:19]
	s_cbranch_execz .LBB2_76
.LBB2_83:                               ;   Parent Loop BB2_74 Depth=1
                                        ;     Parent Loop BB2_79 Depth=2
                                        ; =>    This Inner Loop Header: Depth=3
	ds_read_b32 v15, v11
	s_waitcnt lgkmcnt(0)
	v_cmp_ne_u32_e64 s[6:7], 0, v15
	v_cndmask_b32_e64 v14, 0, 1, s[6:7]
	s_nop 1
	v_mov_b32_dpp v14, v14 row_shr:1 row_mask:0xf bank_mask:0xf bound_ctrl:1
	v_addc_co_u32_e64 v16, s[8:9], 0, v14, s[6:7]
	s_nop 1
	v_mov_b32_dpp v16, v16 row_shr:2 row_mask:0xf bank_mask:0xf bound_ctrl:1
	v_addc_co_u32_e64 v14, s[8:9], v16, v14, s[6:7]
	s_nop 1
	v_add_u32_dpp v14, v14, v14 row_shr:4 row_mask:0xf bank_mask:0xf bound_ctrl:1
	s_nop 1
	v_add_u32_dpp v14, v14, v14 row_shr:8 row_mask:0xf bank_mask:0xf bound_ctrl:1
	s_nop 1
	v_mov_b32_dpp v16, v14 row_newbcast:7 row_mask:0xf bank_mask:0xf bound_ctrl:1
	v_cndmask_b32_e64 v16, v16, 0, s[4:5]
	v_sub_u32_e32 v14, v14, v16
	s_and_saveexec_b64 s[8:9], s[6:7]
	s_cbranch_execz .LBB2_82
; %bb.84:                               ;   in Loop: Header=BB2_83 Depth=3
	v_add_u32_e32 v16, v12, v15
	v_ashrrev_i32_e32 v17, 31, v16
	v_lshlrev_b64 v[16:17], 2, v[16:17]
	v_mov_b32_e32 v18, s30
	v_add_co_u32_e64 v16, s[6:7], s29, v16
	v_addc_co_u32_e64 v17, s[6:7], v18, v17, s[6:7]
	global_load_dword v20, v[16:17], off
	v_add_u32_e32 v16, s22, v13
	v_perm_b32 v15, v15, v16, s38
	v_add_u32_e32 v16, v14, v10
	v_ashrrev_i32_e32 v17, 31, v16
	v_lshlrev_b64 v[16:17], 2, v[16:17]
	v_mov_b32_e32 v19, s28
	v_add_co_u32_e64 v18, s[6:7], s23, v16
	v_add_u32_e32 v15, 0xff000000, v15
	v_addc_co_u32_e64 v19, s[6:7], v19, v17, s[6:7]
	global_store_dword v[18:19], v15, off
	v_mov_b32_e32 v15, s35
	v_add_co_u32_e64 v16, s[6:7], s31, v16
	v_addc_co_u32_e64 v17, s[6:7], v15, v17, s[6:7]
	s_waitcnt vmcnt(1)
	global_store_dword v[16:17], v20, off
	s_branch .LBB2_82
.LBB2_85:
	s_and_saveexec_b64 s[0:1], s[2:3]
	s_cbranch_execz .LBB2_96
; %bb.86:
	s_and_b32 s0, s33, 0xffffff
	s_lshl_b32 s1, s40, 24
	s_or_b32 s4, s0, s1
	s_mov_b32 s5, s4
	s_add_i32 s34, s34, 4
	s_mov_b64 s[2:3], 0
	s_mov_b32 s8, 0
	v_mov_b32_e32 v1, 0
	s_branch .LBB2_88
.LBB2_87:                               ;   in Loop: Header=BB2_88 Depth=1
	s_or_b64 exec, exec, s[12:13]
	v_add_u32_e32 v0, 0x100, v0
	v_cmp_le_i32_e32 vcc, s44, v0
	s_or_b64 s[2:3], vcc, s[2:3]
	s_andn2_b64 exec, exec, s[2:3]
	s_cbranch_execz .LBB2_96
.LBB2_88:                               ; =>This Loop Header: Depth=1
                                        ;     Child Loop BB2_91 Depth 2
                                        ;     Child Loop BB2_95 Depth 2
	v_lshlrev_b32_e32 v2, 2, v0
	v_add_u32_e32 v3, 0, v2
	v_add_u32_e32 v4, s34, v2
	ds_read_b32 v2, v3
	ds_read_b32 v8, v4
	s_waitcnt lgkmcnt(0)
	v_cmp_gt_i32_e32 vcc, v8, v2
	s_and_saveexec_b64 s[12:13], vcc
	s_cbranch_execz .LBB2_87
; %bb.89:                               ;   in Loop: Header=BB2_88 Depth=1
	v_sub_u32_e32 v3, v8, v2
	v_cmp_lt_u32_e32 vcc, 15, v3
	s_mov_b64 s[6:7], -1
	s_and_saveexec_b64 s[0:1], vcc
	s_cbranch_execz .LBB2_93
; %bb.90:                               ;   in Loop: Header=BB2_88 Depth=1
	v_and_b32_e32 v6, -16, v3
	s_mov_b64 s[14:15], 0
	v_mov_b32_e32 v4, v2
	v_mov_b32_e32 v7, v6
.LBB2_91:                               ;   Parent Loop BB2_88 Depth=1
                                        ; =>  This Inner Loop Header: Depth=2
	v_ashrrev_i32_e32 v5, 31, v4
	v_lshlrev_b64 v[14:15], 2, v[4:5]
	v_mov_b32_e32 v5, s25
	v_add_co_u32_e32 v16, vcc, s24, v14
	v_addc_co_u32_e32 v17, vcc, v5, v15, vcc
	s_mov_b32 s6, s4
	s_mov_b32 s7, s5
	v_pk_mov_b32 v[12:13], s[6:7], s[6:7] op_sel:[0,1]
	v_mov_b32_e32 v5, s27
	v_add_co_u32_e32 v14, vcc, s26, v14
	v_pk_mov_b32 v[10:11], s[4:5], s[4:5] op_sel:[0,1]
	v_addc_co_u32_e32 v15, vcc, v5, v15, vcc
	s_mov_b32 s10, s8
	s_mov_b32 s11, s8
	v_add_u32_e32 v7, -16, v7
	global_store_dwordx4 v[16:17], v[10:13], off
	global_store_dwordx4 v[16:17], v[10:13], off offset:16
	global_store_dwordx4 v[16:17], v[10:13], off offset:32
	;; [unrolled: 1-line block ×3, first 2 shown]
	s_mov_b32 s9, s8
	v_pk_mov_b32 v[12:13], s[10:11], s[10:11] op_sel:[0,1]
	v_cmp_eq_u32_e32 vcc, 0, v7
	v_pk_mov_b32 v[10:11], s[8:9], s[8:9] op_sel:[0,1]
	s_or_b64 s[14:15], vcc, s[14:15]
	v_add_u32_e32 v4, 16, v4
	global_store_dwordx4 v[14:15], v[10:13], off
	global_store_dwordx4 v[14:15], v[10:13], off offset:16
	global_store_dwordx4 v[14:15], v[10:13], off offset:32
	global_store_dwordx4 v[14:15], v[10:13], off offset:48
	s_andn2_b64 exec, exec, s[14:15]
	s_cbranch_execnz .LBB2_91
; %bb.92:                               ;   in Loop: Header=BB2_88 Depth=1
	s_or_b64 exec, exec, s[14:15]
	v_cmp_ne_u32_e32 vcc, v3, v6
	v_add_u32_e32 v2, v2, v6
	s_orn2_b64 s[6:7], vcc, exec
.LBB2_93:                               ;   in Loop: Header=BB2_88 Depth=1
	s_or_b64 exec, exec, s[0:1]
	s_and_b64 exec, exec, s[6:7]
	s_cbranch_execz .LBB2_87
; %bb.94:                               ;   in Loop: Header=BB2_88 Depth=1
	v_ashrrev_i32_e32 v3, 31, v2
	v_lshlrev_b64 v[6:7], 2, v[2:3]
	v_mov_b32_e32 v3, s25
	v_add_co_u32_e32 v4, vcc, s24, v6
	v_addc_co_u32_e32 v5, vcc, v3, v7, vcc
	v_mov_b32_e32 v3, s27
	v_add_co_u32_e32 v6, vcc, s26, v6
	v_addc_co_u32_e32 v7, vcc, v3, v7, vcc
	s_mov_b64 s[6:7], 0
.LBB2_95:                               ;   Parent Loop BB2_88 Depth=1
                                        ; =>  This Inner Loop Header: Depth=2
	global_store_dword v[6:7], v1, off
	v_add_co_u32_e32 v6, vcc, 4, v6
	v_mov_b32_e32 v3, s4
	v_add_u32_e32 v2, 1, v2
	v_addc_co_u32_e32 v7, vcc, 0, v7, vcc
	global_store_dword v[4:5], v3, off
	v_cmp_ge_i32_e32 vcc, v2, v8
	v_add_co_u32_e64 v4, s[0:1], 4, v4
	s_or_b64 s[6:7], vcc, s[6:7]
	v_addc_co_u32_e64 v5, vcc, 0, v5, s[0:1]
	s_andn2_b64 exec, exec, s[6:7]
	s_cbranch_execnz .LBB2_95
	s_branch .LBB2_87
.LBB2_96:
	s_endpgm
	.section	.rodata,"a",@progbits
	.p2align	6, 0x0
	.amdhsa_kernel _ZN5aiter22opus_moe_sorting_entryINS_16MoeSortingKernelINS_19MoeSortingProblemExIifLi4ELb1ELb1ELb1ELb1ELi0EEEEENS4_5KargsEEEvT0_
		.amdhsa_group_segment_fixed_size 0
		.amdhsa_private_segment_fixed_size 0
		.amdhsa_kernarg_size 400
		.amdhsa_user_sgpr_count 6
		.amdhsa_user_sgpr_private_segment_buffer 1
		.amdhsa_user_sgpr_dispatch_ptr 0
		.amdhsa_user_sgpr_queue_ptr 0
		.amdhsa_user_sgpr_kernarg_segment_ptr 1
		.amdhsa_user_sgpr_dispatch_id 0
		.amdhsa_user_sgpr_flat_scratch_init 0
		.amdhsa_user_sgpr_kernarg_preload_length 0
		.amdhsa_user_sgpr_kernarg_preload_offset 0
		.amdhsa_user_sgpr_private_segment_size 0
		.amdhsa_uses_dynamic_stack 0
		.amdhsa_system_sgpr_private_segment_wavefront_offset 0
		.amdhsa_system_sgpr_workgroup_id_x 1
		.amdhsa_system_sgpr_workgroup_id_y 0
		.amdhsa_system_sgpr_workgroup_id_z 0
		.amdhsa_system_sgpr_workgroup_info 0
		.amdhsa_system_vgpr_workitem_id 0
		.amdhsa_next_free_vgpr 27
		.amdhsa_next_free_sgpr 48
		.amdhsa_accum_offset 28
		.amdhsa_reserve_vcc 1
		.amdhsa_reserve_flat_scratch 0
		.amdhsa_float_round_mode_32 0
		.amdhsa_float_round_mode_16_64 0
		.amdhsa_float_denorm_mode_32 3
		.amdhsa_float_denorm_mode_16_64 3
		.amdhsa_dx10_clamp 1
		.amdhsa_ieee_mode 1
		.amdhsa_fp16_overflow 0
		.amdhsa_tg_split 0
		.amdhsa_exception_fp_ieee_invalid_op 0
		.amdhsa_exception_fp_denorm_src 0
		.amdhsa_exception_fp_ieee_div_zero 0
		.amdhsa_exception_fp_ieee_overflow 0
		.amdhsa_exception_fp_ieee_underflow 0
		.amdhsa_exception_fp_ieee_inexact 0
		.amdhsa_exception_int_div_zero 0
	.end_amdhsa_kernel
	.section	.text._ZN5aiter22opus_moe_sorting_entryINS_16MoeSortingKernelINS_19MoeSortingProblemExIifLi4ELb1ELb1ELb1ELb1ELi0EEEEENS4_5KargsEEEvT0_,"axG",@progbits,_ZN5aiter22opus_moe_sorting_entryINS_16MoeSortingKernelINS_19MoeSortingProblemExIifLi4ELb1ELb1ELb1ELb1ELi0EEEEENS4_5KargsEEEvT0_,comdat
.Lfunc_end2:
	.size	_ZN5aiter22opus_moe_sorting_entryINS_16MoeSortingKernelINS_19MoeSortingProblemExIifLi4ELb1ELb1ELb1ELb1ELi0EEEEENS4_5KargsEEEvT0_, .Lfunc_end2-_ZN5aiter22opus_moe_sorting_entryINS_16MoeSortingKernelINS_19MoeSortingProblemExIifLi4ELb1ELb1ELb1ELb1ELi0EEEEENS4_5KargsEEEvT0_
                                        ; -- End function
	.section	.AMDGPU.csdata,"",@progbits
; Kernel info:
; codeLenInByte = 4444
; NumSgprs: 52
; NumVgprs: 27
; NumAgprs: 0
; TotalNumVgprs: 27
; ScratchSize: 0
; MemoryBound: 0
; FloatMode: 240
; IeeeMode: 1
; LDSByteSize: 0 bytes/workgroup (compile time only)
; SGPRBlocks: 6
; VGPRBlocks: 3
; NumSGPRsForWavesPerEU: 52
; NumVGPRsForWavesPerEU: 27
; AccumOffset: 28
; Occupancy: 8
; WaveLimiterHint : 1
; COMPUTE_PGM_RSRC2:SCRATCH_EN: 0
; COMPUTE_PGM_RSRC2:USER_SGPR: 6
; COMPUTE_PGM_RSRC2:TRAP_HANDLER: 0
; COMPUTE_PGM_RSRC2:TGID_X_EN: 1
; COMPUTE_PGM_RSRC2:TGID_Y_EN: 0
; COMPUTE_PGM_RSRC2:TGID_Z_EN: 0
; COMPUTE_PGM_RSRC2:TIDIG_COMP_CNT: 0
; COMPUTE_PGM_RSRC3_GFX90A:ACCUM_OFFSET: 6
; COMPUTE_PGM_RSRC3_GFX90A:TG_SPLIT: 0
	.section	.text._ZN5aiter22opus_moe_sorting_entryINS_16MoeSortingKernelINS_19MoeSortingProblemExIifLi2ELb1ELb1ELb1ELb1ELi0EEEEENS4_5KargsEEEvT0_,"axG",@progbits,_ZN5aiter22opus_moe_sorting_entryINS_16MoeSortingKernelINS_19MoeSortingProblemExIifLi2ELb1ELb1ELb1ELb1ELi0EEEEENS4_5KargsEEEvT0_,comdat
	.protected	_ZN5aiter22opus_moe_sorting_entryINS_16MoeSortingKernelINS_19MoeSortingProblemExIifLi2ELb1ELb1ELb1ELb1ELi0EEEEENS4_5KargsEEEvT0_ ; -- Begin function _ZN5aiter22opus_moe_sorting_entryINS_16MoeSortingKernelINS_19MoeSortingProblemExIifLi2ELb1ELb1ELb1ELb1ELi0EEEEENS4_5KargsEEEvT0_
	.globl	_ZN5aiter22opus_moe_sorting_entryINS_16MoeSortingKernelINS_19MoeSortingProblemExIifLi2ELb1ELb1ELb1ELb1ELi0EEEEENS4_5KargsEEEvT0_
	.p2align	8
	.type	_ZN5aiter22opus_moe_sorting_entryINS_16MoeSortingKernelINS_19MoeSortingProblemExIifLi2ELb1ELb1ELb1ELb1ELi0EEEEENS4_5KargsEEEvT0_,@function
_ZN5aiter22opus_moe_sorting_entryINS_16MoeSortingKernelINS_19MoeSortingProblemExIifLi2ELb1ELb1ELb1ELb1ELi0EEEEENS4_5KargsEEEvT0_: ; @_ZN5aiter22opus_moe_sorting_entryINS_16MoeSortingKernelINS_19MoeSortingProblemExIifLi2ELb1ELb1ELb1ELb1ELi0EEEEENS4_5KargsEEEvT0_
; %bb.0:
	s_load_dwordx16 s[12:27], s[4:5], 0x0
	s_load_dwordx4 s[8:11], s[4:5], 0x40
	s_load_dwordx4 s[28:31], s[4:5], 0x54
	s_cmp_eq_u32 s6, 0
	s_waitcnt lgkmcnt(0)
	s_load_dword s33, s[18:19], 0x0
	s_cbranch_scc1 .LBB3_7
; %bb.1:
	s_cmp_eq_u64 s[8:9], 0
	s_mov_b64 s[2:3], 0
	s_cbranch_scc1 .LBB3_6
; %bb.2:
	s_waitcnt lgkmcnt(0)
	s_ashr_i32 s0, s33, 31
	s_mul_i32 s7, s30, s29
	s_mul_hi_i32 s1, s30, s29
	s_mul_i32 s0, s7, s0
	s_mul_hi_u32 s18, s7, s33
	s_add_i32 s0, s18, s0
	s_mul_i32 s1, s1, s33
	s_add_i32 s1, s0, s1
	s_mul_i32 s0, s7, s33
	s_ashr_i32 s7, s1, 31
	s_lshr_b32 s18, s7, 28
	s_add_u32 s0, s0, s18
	s_addc_u32 s1, s1, 0
	v_lshl_add_u32 v1, s6, 8, v0
	s_ashr_i64 s[18:19], s[0:1], 4
	v_add_u32_e32 v2, 0xffffff00, v1
	v_mov_b32_e32 v3, 0
	s_mov_b32 s7, 0
	v_cmp_gt_i64_e32 vcc, s[18:19], v[2:3]
	s_and_saveexec_b64 s[30:31], vcc
	s_cbranch_execz .LBB3_5
; %bb.3:
	s_load_dword s0, s[4:5], 0x90
	v_lshlrev_b64 v[4:5], 4, v[2:3]
	v_mov_b32_e32 v1, s9
	v_add_co_u32_e32 v8, vcc, s8, v4
	s_waitcnt lgkmcnt(0)
	s_lshl_b32 s0, s0, 8
	s_add_i32 s6, s0, 0xffffff00
	s_lshl_b64 s[8:9], s[6:7], 4
	v_pk_mov_b32 v[6:7], v[2:3], v[2:3] op_sel:[0,1]
	v_addc_co_u32_e32 v9, vcc, v1, v5, vcc
	s_mov_b64 s[34:35], 0
	v_mov_b32_e32 v2, v3
	v_mov_b32_e32 v4, v3
	;; [unrolled: 1-line block ×5, first 2 shown]
.LBB3_4:                                ; =>This Inner Loop Header: Depth=1
	v_add_co_u32_e32 v6, vcc, s6, v6
	v_addc_co_u32_e32 v7, vcc, v7, v1, vcc
	global_store_dwordx4 v[8:9], v[2:5], off
	v_add_co_u32_e32 v8, vcc, s8, v8
	v_cmp_le_i64_e64 s[0:1], s[18:19], v[6:7]
	s_or_b64 s[34:35], s[0:1], s[34:35]
	v_addc_co_u32_e32 v9, vcc, v9, v10, vcc
	s_andn2_b64 exec, exec, s[34:35]
	s_cbranch_execnz .LBB3_4
.LBB3_5:
	s_or_b64 exec, exec, s[30:31]
.LBB3_6:
	s_andn2_b64 vcc, exec, s[2:3]
	s_cbranch_vccz .LBB3_8
	s_branch .LBB3_96
.LBB3_7:
.LBB3_8:
	s_load_dwordx8 s[36:43], s[4:5], 0x64
	s_load_dwordx2 s[0:1], s[4:5], 0x84
	v_lshrrev_b32_e32 v1, 6, v0
	v_readfirstlane_b32 s44, v1
	s_add_i32 s34, s28, 1
	s_waitcnt lgkmcnt(0)
	s_add_i32 s29, s36, -2
	s_mul_i32 s18, s29, s28
	v_cmp_gt_i32_e32 vcc, s18, v0
	s_and_saveexec_b64 s[2:3], vcc
	s_cbranch_execz .LBB3_18
; %bb.9:
	v_xad_u32 v2, v0, -1, s18
	s_movk_i32 s6, 0xff
	s_mov_b32 s5, 0
	s_mov_b32 s4, s0
	s_sub_i32 s0, s34, s43
	v_cmp_lt_u32_e32 vcc, s6, v2
	s_mov_b64 s[8:9], 0
                                        ; implicit-def: $vgpr1
                                        ; implicit-def: $sgpr19
	s_and_saveexec_b64 s[6:7], vcc
	s_xor_b64 s[6:7], exec, s[6:7]
	s_cbranch_execnz .LBB3_12
; %bb.10:
	s_or_saveexec_b64 s[6:7], s[6:7]
	v_mov_b32_e32 v2, s19
	s_xor_b64 exec, exec, s[6:7]
	s_cbranch_execnz .LBB3_15
.LBB3_11:
	s_or_b64 exec, exec, s[6:7]
	s_and_b64 exec, exec, s[8:9]
	s_cbranch_execnz .LBB3_16
	s_branch .LBB3_18
.LBB3_12:
	v_lshrrev_b32_e32 v1, 8, v2
	v_add_u32_e32 v4, 1, v1
	s_lshl_b32 s19, s28, 3
	v_and_b32_e32 v5, 0x1fffffe, v4
	v_add_u32_e32 v1, 0x100, v0
	s_add_i32 s8, s19, 0
	s_mov_b32 s30, s4
	s_mov_b32 s31, s1
	;; [unrolled: 1-line block ×3, first 2 shown]
	v_lshl_add_u32 v6, v0, 2, s8
	s_mov_b64 s[8:9], 0
	v_mov_b32_e32 v7, 0
	v_mov_b32_e32 v8, v5
	v_pk_mov_b32 v[2:3], v[0:1], v[0:1] op_sel:[0,1]
.LBB3_13:                               ; =>This Inner Loop Header: Depth=1
	v_mul_hi_u32 v1, s4, v2
	v_mul_hi_u32 v9, s30, v3
	v_add_u32_e32 v9, v3, v9
	v_add_u32_e32 v1, v2, v1
	v_add_u32_e32 v8, -2, v8
	v_lshrrev_b32_e32 v1, s31, v1
	v_lshrrev_b32_e32 v9, s1, v9
	v_cmp_eq_u32_e32 vcc, 0, v8
	v_mul_lo_u32 v9, v9, s35
	v_mul_lo_u32 v1, v1, s0
	v_add_u32_e32 v3, 0x200, v3
	v_add_u32_e32 v2, 0x200, v2
	s_or_b64 s[8:9], vcc, s[8:9]
	v_lshl_add_u32 v1, v1, 2, v6
	v_lshl_add_u32 v9, v9, 2, v6
	v_add_u32_e32 v6, 0x800, v6
	ds_write_b32 v1, v7 offset:8
	ds_write_b32 v9, v7 offset:1032
	s_andn2_b64 exec, exec, s[8:9]
	s_cbranch_execnz .LBB3_13
; %bb.14:
	s_or_b64 exec, exec, s[8:9]
	v_cmp_ne_u32_e32 vcc, v4, v5
	v_lshl_add_u32 v1, v5, 8, v0
	s_and_b64 s[8:9], vcc, exec
	s_or_saveexec_b64 s[6:7], s[6:7]
	v_mov_b32_e32 v2, s19
	s_xor_b64 exec, exec, s[6:7]
	s_cbranch_execz .LBB3_11
.LBB3_15:
	s_lshl_b32 s19, s28, 3
	v_mov_b32_e32 v2, s19
	s_or_b64 s[8:9], s[8:9], exec
	v_mov_b32_e32 v1, v0
	s_or_b64 exec, exec, s[6:7]
	s_and_b64 exec, exec, s[8:9]
	s_cbranch_execz .LBB3_18
.LBB3_16:
	v_lshl_add_u32 v2, v1, 2, v2
	v_mad_u64_u32 v[4:5], s[6:7], v1, s4, 0
	s_lshl_b64 s[4:5], s[4:5], 8
	s_lshl_b32 s0, s0, 2
	v_add3_u32 v2, v2, 0, 8
	s_mov_b64 s[6:7], 0
	v_mov_b32_e32 v3, 0
	v_mov_b32_e32 v6, s5
.LBB3_17:                               ; =>This Inner Loop Header: Depth=1
	v_add_co_u32_e32 v4, vcc, s4, v4
	v_add_u32_e32 v7, v1, v5
	v_add_u32_e32 v1, 0x100, v1
	v_addc_co_u32_e32 v5, vcc, v5, v6, vcc
	v_lshrrev_b32_e32 v7, s1, v7
	v_cmp_le_i32_e32 vcc, s18, v1
	v_mad_u64_u32 v[8:9], s[8:9], s0, v7, v[2:3]
	v_add_u32_e32 v2, 0x400, v2
	s_or_b64 s[6:7], vcc, s[6:7]
	ds_write_b32 v8, v3
	s_andn2_b64 exec, exec, s[6:7]
	s_cbranch_execnz .LBB3_17
.LBB3_18:
	s_or_b64 exec, exec, s[2:3]
	s_cmp_gt_i32 s33, 0
	s_mov_b32 s3, 0
	s_cselect_b64 s[18:19], -1, 0
	s_cmp_lt_i32 s33, 1
	s_mul_i32 s43, s40, s29
	s_waitcnt lgkmcnt(0)
	s_barrier
	s_cbranch_scc1 .LBB3_26
; %bb.19:
	s_lshl_b32 s0, s34, 3
	s_mov_b32 s2, s41
	s_add_i32 s35, s0, 0
	v_cmp_gt_i32_e32 vcc, s43, v0
	s_sub_i32 s45, 0, s40
	v_mad_u64_u32 v[2:3], s[0:1], v0, s41, 0
	s_lshl_b64 s[4:5], s[2:3], 8
	v_mov_b32_e32 v5, 0
	s_mov_b32 s2, 0
	s_branch .LBB3_21
.LBB3_20:                               ;   in Loop: Header=BB3_21 Depth=1
	s_or_b64 exec, exec, s[6:7]
	s_add_i32 s2, s2, s29
	s_add_i32 s3, s3, s43
	s_cmp_ge_i32 s2, s33
	s_barrier
	s_cbranch_scc1 .LBB3_26
.LBB3_21:                               ; =>This Loop Header: Depth=1
                                        ;     Child Loop BB3_24 Depth 2
	s_and_saveexec_b64 s[6:7], vcc
	s_cbranch_execz .LBB3_20
; %bb.22:                               ;   in Loop: Header=BB3_21 Depth=1
	s_mov_b64 s[8:9], 0
	v_pk_mov_b32 v[6:7], v[2:3], v[2:3] op_sel:[0,1]
	v_mov_b32_e32 v1, v0
	s_branch .LBB3_24
.LBB3_23:                               ;   in Loop: Header=BB3_24 Depth=2
	s_or_b64 exec, exec, s[30:31]
	v_add_u32_e32 v1, 0x100, v1
	v_cmp_le_i32_e64 s[0:1], s43, v1
	v_mov_b32_e32 v4, s5
	s_or_b64 s[8:9], s[0:1], s[8:9]
	v_add_co_u32_e64 v6, s[0:1], s4, v6
	v_addc_co_u32_e64 v7, s[0:1], v7, v4, s[0:1]
	s_waitcnt lgkmcnt(0)
	s_andn2_b64 exec, exec, s[8:9]
	s_cbranch_execz .LBB3_20
.LBB3_24:                               ;   Parent Loop BB3_21 Depth=1
                                        ; =>  This Inner Loop Header: Depth=2
	v_add_u32_e32 v4, v1, v7
	v_lshrrev_b32_e32 v8, s42, v4
	v_add_u32_e32 v4, s2, v8
	v_cmp_gt_i32_e64 s[0:1], s33, v4
	s_and_saveexec_b64 s[30:31], s[0:1]
	s_cbranch_execz .LBB3_23
; %bb.25:                               ;   in Loop: Header=BB3_24 Depth=2
	v_add_u32_e32 v4, s3, v1
	v_lshlrev_b64 v[10:11], 2, v[4:5]
	v_mov_b32_e32 v4, s13
	v_add_co_u32_e64 v10, s[0:1], s12, v10
	v_addc_co_u32_e64 v11, s[0:1], v4, v11, s[0:1]
	global_load_dword v4, v[10:11], off
	v_mul_lo_u32 v9, s45, v8
	v_mul_lo_u32 v8, v8, s34
	v_lshlrev_b32_e32 v8, 2, v8
	v_add3_u32 v9, v1, v9, 1
	s_waitcnt vmcnt(0)
	v_lshlrev_b32_e32 v4, 2, v4
	v_add3_u32 v4, s35, v4, v8
	ds_write_b32 v4, v9
	s_branch .LBB3_23
.LBB3_26:
	v_cmp_eq_u32_e32 vcc, 0, v0
	s_and_saveexec_b64 s[0:1], vcc
	s_cbranch_execz .LBB3_28
; %bb.27:
	v_mov_b32_e32 v1, 0
	ds_write_b32 v1, v1
.LBB3_28:
	s_or_b64 exec, exec, s[0:1]
	v_mbcnt_lo_u32_b32 v1, -1, 0
	v_and_b32_e32 v9, 7, v0
	v_mbcnt_hi_u32_b32 v12, -1, v1
	v_lshrrev_b32_e32 v8, 3, v0
	v_mul_lo_u32 v1, s34, v9
	v_cmp_gt_i32_e64 s[0:1], s28, v8
	v_lshlrev_b32_e32 v10, 2, v1
	v_lshlrev_b32_e32 v11, 2, v8
	s_and_saveexec_b64 s[30:31], s[0:1]
	s_cbranch_execz .LBB3_36
; %bb.29:
	s_cmp_gt_i32 s36, 2
	s_mul_i32 s4, s28, 40
	v_add3_u32 v4, v10, s4, v11
	s_cselect_b64 s[4:5], -1, 0
	s_lshl_b32 s6, s28, 3
	v_lshlrev_b32_e32 v3, 2, v12
	s_lshl_b32 s36, s28, 6
	v_add3_u32 v5, v10, s6, v11
	v_cndmask_b32_e64 v6, 0, 1, s[4:5]
	v_xor_b32_e32 v1, 4, v3
	v_xor_b32_e32 v2, 8, v3
	;; [unrolled: 1-line block ×3, first 2 shown]
	v_cmp_eq_u32_e64 s[2:3], 0, v9
	v_add3_u32 v4, v4, 0, 40
	s_add_i32 s36, s36, 64
	v_add3_u32 v5, v5, 0, 8
	s_mov_b64 s[34:35], 0
	v_cmp_ne_u32_e64 s[4:5], 1, v6
	v_mov_b32_e32 v6, v8
	s_branch .LBB3_31
.LBB3_30:                               ;   in Loop: Header=BB3_31 Depth=1
	s_or_b64 exec, exec, s[6:7]
	v_add_u32_e32 v6, 32, v6
	v_cmp_le_i32_e32 vcc, s28, v6
	v_add_u32_e32 v4, 0x80, v4
	s_or_b64 s[34:35], vcc, s[34:35]
	v_add_u32_e32 v5, 0x80, v5
	s_andn2_b64 exec, exec, s[34:35]
	s_cbranch_execz .LBB3_36
.LBB3_31:                               ; =>This Loop Header: Depth=1
                                        ;     Child Loop BB3_33 Depth 2
	s_and_b64 vcc, exec, s[4:5]
	v_mov_b32_e32 v7, 0
	s_cbranch_vccnz .LBB3_34
; %bb.32:                               ;   in Loop: Header=BB3_31 Depth=1
	s_mov_b32 s41, 0
	v_mov_b32_e32 v7, 0
	s_mov_b32 s42, 0
.LBB3_33:                               ;   Parent Loop BB3_31 Depth=1
                                        ; =>  This Inner Loop Header: Depth=2
	v_add_u32_e32 v13, s41, v5
	v_add_u32_e32 v14, s41, v4
	ds_read_b32 v13, v13
	ds_read_b32 v14, v14
	s_add_i32 s42, s42, 16
	s_add_i32 s41, s41, s36
	s_cmp_lt_i32 s42, s29
	s_waitcnt lgkmcnt(1)
	v_cmp_ne_u32_e32 vcc, 0, v13
	v_cndmask_b32_e64 v13, 0, 1, vcc
	s_waitcnt lgkmcnt(0)
	v_cmp_ne_u32_e64 s[6:7], 0, v14
	v_cndmask_b32_e64 v14, 0, 1, s[6:7]
	ds_bpermute_b32 v13, v1, v13
	ds_bpermute_b32 v14, v1, v14
	s_waitcnt lgkmcnt(1)
	v_addc_co_u32_e64 v15, s[8:9], 0, v13, vcc
	s_waitcnt lgkmcnt(0)
	v_addc_co_u32_e64 v16, s[8:9], 0, v14, s[6:7]
	ds_bpermute_b32 v15, v2, v15
	ds_bpermute_b32 v16, v2, v16
	s_waitcnt lgkmcnt(1)
	v_addc_co_u32_e32 v13, vcc, v15, v13, vcc
	s_waitcnt lgkmcnt(0)
	v_addc_co_u32_e64 v14, vcc, v16, v14, s[6:7]
	ds_bpermute_b32 v15, v3, v13
	ds_bpermute_b32 v16, v3, v14
	s_waitcnt lgkmcnt(1)
	v_add3_u32 v7, v13, v7, v15
	s_waitcnt lgkmcnt(0)
	v_add3_u32 v7, v7, v14, v16
	s_cbranch_scc1 .LBB3_33
.LBB3_34:                               ;   in Loop: Header=BB3_31 Depth=1
	s_and_saveexec_b64 s[6:7], s[2:3]
	s_cbranch_execz .LBB3_30
; %bb.35:                               ;   in Loop: Header=BB3_31 Depth=1
	v_lshl_add_u32 v13, v6, 2, 0
	ds_write_b32 v13, v7 offset:4
	s_branch .LBB3_30
.LBB3_36:
	s_or_b64 exec, exec, s[30:31]
	s_lshl_b32 s35, s28, 2
	s_add_i32 s36, s35, 0
	v_mov_b32_e32 v1, 0
	v_mov_b32_e32 v2, s36
	v_cmp_gt_i32_e64 s[2:3], s28, v0
	ds_write_b32 v2, v1 offset:4
	s_and_saveexec_b64 s[4:5], s[2:3]
	s_cbranch_execz .LBB3_46
; %bb.37:
	v_xad_u32 v1, v0, -1, s28
	s_movk_i32 s6, 0xff
	v_cmp_lt_u32_e32 vcc, s6, v1
	s_mov_b64 s[8:9], 0
                                        ; implicit-def: $vgpr2
	s_and_saveexec_b64 s[6:7], vcc
	s_xor_b64 s[6:7], exec, s[6:7]
	s_cbranch_execnz .LBB3_40
; %bb.38:
	s_or_saveexec_b64 s[6:7], s[6:7]
	v_mov_b32_e32 v1, s35
	s_xor_b64 exec, exec, s[6:7]
	s_cbranch_execnz .LBB3_43
.LBB3_39:
	s_or_b64 exec, exec, s[6:7]
	s_and_b64 exec, exec, s[8:9]
	s_cbranch_execnz .LBB3_44
	s_branch .LBB3_46
.LBB3_40:
	v_lshrrev_b32_e32 v1, 8, v1
	v_add_u32_e32 v6, 1, v1
	v_and_b32_e32 v7, 0x1fffffe, v6
	v_add_u32_e32 v1, 0x100, v0
	v_lshlrev_b32_e32 v2, 2, v0
	v_add3_u32 v13, s36, v2, 8
	v_mov_b32_e32 v14, s17
	v_mov_b32_e32 v3, 0
	;; [unrolled: 1-line block ×3, first 2 shown]
	v_pk_mov_b32 v[4:5], v[0:1], v[0:1] op_sel:[0,1]
.LBB3_41:                               ; =>This Inner Loop Header: Depth=1
	v_mov_b32_e32 v2, v4
	v_lshlrev_b64 v[16:17], 2, v[2:3]
	v_mov_b32_e32 v2, v5
	v_add_co_u32_e32 v16, vcc, s16, v16
	v_addc_co_u32_e32 v17, vcc, v14, v17, vcc
	v_lshlrev_b64 v[18:19], 2, v[2:3]
	v_add_co_u32_e32 v18, vcc, s16, v18
	v_addc_co_u32_e32 v19, vcc, v14, v19, vcc
	global_load_dword v1, v[16:17], off
	global_load_dword v2, v[18:19], off
	v_add_u32_e32 v15, -2, v15
	v_cmp_eq_u32_e32 vcc, 0, v15
	v_add_u32_e32 v4, 0x200, v4
	v_add_u32_e32 v5, 0x200, v5
	s_or_b64 s[8:9], vcc, s[8:9]
	s_waitcnt vmcnt(0)
	ds_write2st64_b32 v13, v1, v2 offset1:4
	v_add_u32_e32 v13, 0x800, v13
	s_andn2_b64 exec, exec, s[8:9]
	s_cbranch_execnz .LBB3_41
; %bb.42:
	s_or_b64 exec, exec, s[8:9]
	v_cmp_ne_u32_e32 vcc, v6, v7
	v_lshl_add_u32 v2, v7, 8, v0
	s_and_b64 s[8:9], vcc, exec
	s_or_saveexec_b64 s[6:7], s[6:7]
	v_mov_b32_e32 v1, s35
	s_xor_b64 exec, exec, s[6:7]
	s_cbranch_execz .LBB3_39
.LBB3_43:
	v_mov_b32_e32 v1, s35
	s_or_b64 s[8:9], s[8:9], exec
	v_mov_b32_e32 v2, v0
	s_or_b64 exec, exec, s[6:7]
	s_and_b64 exec, exec, s[8:9]
	s_cbranch_execz .LBB3_46
.LBB3_44:
	v_mov_b32_e32 v3, 0
	v_lshlrev_b64 v[4:5], 2, v[2:3]
	v_lshl_add_u32 v1, v2, 2, v1
	v_mov_b32_e32 v3, s17
	v_add_co_u32_e32 v4, vcc, s16, v4
	v_add3_u32 v1, v1, 0, 8
	v_addc_co_u32_e32 v5, vcc, v3, v5, vcc
	s_mov_b64 s[6:7], 0
.LBB3_45:                               ; =>This Inner Loop Header: Depth=1
	global_load_dword v3, v[4:5], off
	v_add_co_u32_e32 v4, vcc, 0x400, v4
	v_add_u32_e32 v2, 0x100, v2
	v_addc_co_u32_e32 v5, vcc, 0, v5, vcc
	v_cmp_le_i32_e32 vcc, s28, v2
	s_or_b64 s[6:7], vcc, s[6:7]
	s_waitcnt vmcnt(0)
	ds_write_b32 v1, v3
	v_add_u32_e32 v1, 0x400, v1
	s_andn2_b64 exec, exec, s[6:7]
	s_cbranch_execnz .LBB3_45
.LBB3_46:
	s_or_b64 exec, exec, s[4:5]
	s_add_i32 s34, s36, 4
	s_cmp_lg_u32 s44, 0
	s_waitcnt lgkmcnt(0)
	s_barrier
	s_cbranch_scc1 .LBB3_57
; %bb.47:
	s_mov_b32 s41, 0
	s_cmp_lt_i32 s28, 1
	v_mov_b32_e32 v2, 0
	s_cbranch_scc1 .LBB3_54
; %bb.48:
	v_lshlrev_b32_e32 v2, 2, v12
	v_and_b32_e32 v3, 0xc0, v2
	v_cmp_eq_u32_e32 vcc, 0, v12
	s_add_i32 s42, s37, -1
	v_add_u32_e32 v1, -4, v3
	v_cmp_lt_u32_e64 s[4:5], 15, v12
	v_add_u32_e32 v3, 0xffffffbc, v3
	v_cmp_lt_u32_e64 s[6:7], 31, v12
	v_add_u32_e32 v4, 0, v2
	s_branch .LBB3_50
.LBB3_49:                               ;   in Loop: Header=BB3_50 Depth=1
	s_or_b64 exec, exec, s[30:31]
	s_add_i32 s41, s41, 64
	s_cmp_lt_i32 s41, s28
	v_add_u32_e32 v4, 0x100, v4
	s_waitcnt lgkmcnt(0)
	s_cbranch_scc0 .LBB3_54
.LBB3_50:                               ; =>This Inner Loop Header: Depth=1
	ds_read_b32 v7, v4 offset:4
	v_mov_b32_e32 v2, s41
	v_add_u32_e32 v5, s35, v4
	ds_read_b32 v6, v5 offset:8
	v_cndmask_b32_e32 v2, 0, v2, vcc
	s_waitcnt lgkmcnt(1)
	v_add_u32_e32 v7, s42, v7
	v_lshlrev_b32_e32 v2, 2, v2
	v_mul_hi_u32 v14, v7, s38
	v_add_u32_e32 v13, 0, v2
	v_add_u32_e32 v7, v7, v14
	v_lshrrev_b32_e32 v14, s39, v7
	v_add_u32_e32 v2, s34, v2
	ds_read_b32 v13, v13
	ds_read_b32 v7, v2
	v_mul_lo_u32 v2, v14, s37
	s_waitcnt lgkmcnt(2)
	v_cmp_ne_u32_e64 s[8:9], 0, v6
	v_cndmask_b32_e64 v2, 0, v2, s[8:9]
	s_waitcnt lgkmcnt(1)
	v_add_u32_e32 v2, v2, v13
	v_add_u32_e32 v14, s41, v12
	v_cmp_gt_i32_e64 s[8:9], s28, v14
	v_add_u32_dpp v2, v2, v2 row_shr:1 row_mask:0xf bank_mask:0xf bound_ctrl:1
	s_nop 1
	v_add_u32_dpp v2, v2, v2 row_shr:2 row_mask:0xf bank_mask:0xf bound_ctrl:1
	s_nop 1
	;; [unrolled: 2-line block ×3, first 2 shown]
	v_add_u32_dpp v2, v2, v2 row_shr:8 row_mask:0xf bank_mask:0xf bound_ctrl:1
	ds_bpermute_b32 v13, v1, v2
	s_waitcnt lgkmcnt(0)
	v_cndmask_b32_e64 v13, 0, v13, s[4:5]
	v_add_u32_e32 v2, v2, v13
	ds_bpermute_b32 v13, v3, v2
	s_waitcnt lgkmcnt(0)
	v_cndmask_b32_e64 v13, 0, v13, s[6:7]
	v_add_u32_e32 v2, v2, v13
	s_and_saveexec_b64 s[30:31], s[8:9]
	s_cbranch_execz .LBB3_52
; %bb.51:                               ;   in Loop: Header=BB3_50 Depth=1
	ds_write_b32 v4, v2 offset:4
.LBB3_52:                               ;   in Loop: Header=BB3_50 Depth=1
	s_or_b64 exec, exec, s[30:31]
	v_add_u32_e32 v6, v6, v7
	s_nop 1
	v_add_u32_dpp v6, v6, v6 row_shr:1 row_mask:0xf bank_mask:0xf bound_ctrl:1
	s_nop 1
	v_add_u32_dpp v6, v6, v6 row_shr:2 row_mask:0xf bank_mask:0xf bound_ctrl:1
	;; [unrolled: 2-line block ×4, first 2 shown]
	ds_bpermute_b32 v7, v1, v6
	s_waitcnt lgkmcnt(0)
	v_cndmask_b32_e64 v7, 0, v7, s[4:5]
	v_add_u32_e32 v6, v7, v6
	ds_bpermute_b32 v7, v3, v6
	s_and_saveexec_b64 s[30:31], s[8:9]
	s_cbranch_execz .LBB3_49
; %bb.53:                               ;   in Loop: Header=BB3_50 Depth=1
	s_waitcnt lgkmcnt(0)
	v_cndmask_b32_e64 v7, 0, v7, s[6:7]
	v_add_u32_e32 v6, v7, v6
	ds_write_b32 v5, v6 offset:8
	s_branch .LBB3_49
.LBB3_54:
	v_add_u32_e32 v1, s41, v12
	v_subrev_u32_e32 v1, 63, v1
	v_cmp_eq_u32_e32 vcc, s28, v1
	s_and_saveexec_b64 s[4:5], vcc
	s_cbranch_execz .LBB3_56
; %bb.55:
	v_mov_b32_e32 v1, 0
	v_mov_b32_e32 v3, s33
	global_store_dwordx2 v1, v[2:3], s[26:27]
.LBB3_56:
	s_or_b64 exec, exec, s[4:5]
.LBB3_57:
	s_cmp_eq_u64 s[10:11], 0
	s_barrier
	s_cbranch_scc1 .LBB3_64
; %bb.58:
	s_mul_i32 s26, s33, s40
	v_cmp_gt_i32_e32 vcc, s26, v0
	s_and_saveexec_b64 s[6:7], vcc
	s_cbranch_execz .LBB3_63
; %bb.59:
	v_lshlrev_b32_e32 v1, 2, v0
	v_mov_b32_e32 v3, s13
	v_add_co_u32_e32 v2, vcc, s12, v1
	v_addc_co_u32_e32 v3, vcc, 0, v3, vcc
	v_mov_b32_e32 v5, s11
	v_add_co_u32_e32 v4, vcc, s10, v1
	v_addc_co_u32_e32 v5, vcc, 0, v5, vcc
	s_mov_b64 s[8:9], 0
	v_mov_b32_e32 v1, s17
	v_mov_b32_e32 v13, v0
	s_branch .LBB3_61
.LBB3_60:                               ;   in Loop: Header=BB3_61 Depth=1
	s_or_b64 exec, exec, s[4:5]
	v_add_co_u32_e32 v2, vcc, 0x400, v2
	v_add_u32_e32 v13, 0x100, v13
	v_addc_co_u32_e32 v3, vcc, 0, v3, vcc
	s_waitcnt lgkmcnt(0)
	global_store_dword v[4:5], v7, off
	v_add_co_u32_e32 v4, vcc, 0x400, v4
	v_cmp_le_i32_e64 s[4:5], s26, v13
	s_or_b64 s[8:9], s[4:5], s[8:9]
	v_addc_co_u32_e32 v5, vcc, 0, v5, vcc
	s_andn2_b64 exec, exec, s[8:9]
	s_cbranch_execz .LBB3_63
.LBB3_61:                               ; =>This Inner Loop Header: Depth=1
	global_load_dword v6, v[2:3], off
	s_waitcnt vmcnt(0)
	v_ashrrev_i32_e32 v7, 31, v6
	v_lshlrev_b64 v[14:15], 2, v[6:7]
	v_add_co_u32_e32 v14, vcc, s16, v14
	v_addc_co_u32_e32 v15, vcc, v1, v15, vcc
	global_load_dword v7, v[14:15], off
	s_waitcnt vmcnt(0)
	v_cmp_ne_u32_e32 vcc, 0, v7
	v_mov_b32_e32 v7, -1
	s_and_saveexec_b64 s[4:5], vcc
	s_cbranch_execz .LBB3_60
; %bb.62:                               ;   in Loop: Header=BB3_61 Depth=1
	v_lshl_add_u32 v6, v6, 2, s34
	ds_read_b32 v7, v6
	s_branch .LBB3_60
.LBB3_63:
	s_or_b64 exec, exec, s[6:7]
	s_barrier
.LBB3_64:
	s_and_saveexec_b64 s[6:7], s[2:3]
	s_cbranch_execz .LBB3_71
; %bb.65:
	s_mov_b64 s[8:9], 0
	v_mov_b32_e32 v3, 0
	v_mov_b32_e32 v4, v0
	s_branch .LBB3_67
.LBB3_66:                               ;   in Loop: Header=BB3_67 Depth=1
	s_or_b64 exec, exec, s[10:11]
	v_add_u32_e32 v4, 0x100, v4
	v_cmp_le_i32_e32 vcc, s28, v4
	s_or_b64 s[8:9], vcc, s[8:9]
	s_andn2_b64 exec, exec, s[8:9]
	s_cbranch_execz .LBB3_71
.LBB3_67:                               ; =>This Loop Header: Depth=1
                                        ;     Child Loop BB3_70 Depth 2
	s_waitcnt lgkmcnt(1)
	v_lshlrev_b32_e32 v1, 2, v4
	v_add_u32_e32 v2, 0, v1
	ds_read2_b32 v[6:7], v2 offset1:1
	v_add_u32_e32 v2, s34, v1
	ds_read_b32 v1, v2
	s_waitcnt lgkmcnt(1)
	v_cmp_ne_u32_e32 vcc, v6, v7
	ds_write_b32 v2, v6
	s_and_saveexec_b64 s[10:11], vcc
	s_cbranch_execz .LBB3_66
; %bb.68:                               ;   in Loop: Header=BB3_67 Depth=1
	v_mov_b32_e32 v5, v3
	v_lshlrev_b64 v[14:15], 2, v[4:5]
	v_mov_b32_e32 v2, s17
	v_add_co_u32_e32 v14, vcc, s16, v14
	v_addc_co_u32_e32 v15, vcc, v2, v15, vcc
	global_load_dword v2, v[14:15], off
	v_cmp_lt_i32_e64 s[4:5], v6, v7
	s_waitcnt vmcnt(0)
	v_cmp_ne_u32_e32 vcc, 0, v2
	s_and_b64 s[4:5], s[4:5], vcc
	s_and_b64 exec, exec, s[4:5]
	s_cbranch_execz .LBB3_66
; %bb.69:                               ;   in Loop: Header=BB3_67 Depth=1
	s_mov_b64 s[4:5], 0
.LBB3_70:                               ;   Parent Loop BB3_67 Depth=1
                                        ; =>  This Inner Loop Header: Depth=2
	v_mul_hi_u32 v2, s38, v6
	v_add_u32_e32 v2, v6, v2
	v_add_u32_e32 v6, s37, v6
	v_lshrrev_b32_e32 v2, s39, v2
	v_cmp_ge_i32_e32 vcc, v6, v7
	v_lshlrev_b64 v[14:15], 2, v[2:3]
	v_mov_b32_e32 v5, s25
	s_or_b64 s[4:5], vcc, s[4:5]
	v_add_co_u32_e32 v14, vcc, s24, v14
	v_addc_co_u32_e32 v15, vcc, v5, v15, vcc
	s_waitcnt lgkmcnt(1)
	global_store_dword v[14:15], v1, off
	s_andn2_b64 exec, exec, s[4:5]
	s_cbranch_execnz .LBB3_70
	s_branch .LBB3_66
.LBB3_71:
	s_or_b64 exec, exec, s[6:7]
	s_waitcnt lgkmcnt(1)
	v_mov_b32_e32 v1, s36
	s_waitcnt lgkmcnt(0)
	s_barrier
	ds_read_b32 v1, v1
	s_add_i32 s4, s36, s35
	v_mov_b32_e32 v2, s4
	s_andn2_b64 vcc, exec, s[18:19]
	s_waitcnt lgkmcnt(0)
	ds_write_b32 v2, v1 offset:4
	s_cbranch_vccnz .LBB3_85
; %bb.72:
	s_add_u32 s27, s20, -4
	s_addc_u32 s30, s21, -1
	s_add_u32 s31, s14, -4
	s_addc_u32 s35, s15, -1
	;; [unrolled: 2-line block ×3, first 2 shown]
	s_lshl_b32 s6, s28, 3
	v_and_b32_e32 v1, 8, v12
	v_add3_u32 v2, v10, s6, v11
	s_lshl_b32 s39, s28, 5
	v_cmp_gt_i32_e32 vcc, s29, v9
	s_mov_b32 s26, 0
	v_cmp_eq_u32_e64 s[4:5], 0, v1
	v_lshl_or_b32 v1, v0, 2, 28
	v_mul_lo_u32 v4, s40, v9
	s_lshl_b32 s38, s40, 3
	v_add3_u32 v5, v2, 0, 8
	s_add_i32 s39, s39, 32
	v_mov_b32_e32 v3, 0
	s_mov_b32 s41, 0x4020100
	s_branch .LBB3_74
.LBB3_73:                               ;   in Loop: Header=BB3_74 Depth=1
	s_or_b64 exec, exec, s[10:11]
	s_add_i32 s26, s26, s29
	s_cmp_ge_i32 s26, s33
	v_add_u32_e32 v4, s43, v4
	s_waitcnt lgkmcnt(0)
	s_barrier
	s_cbranch_scc1 .LBB3_85
.LBB3_74:                               ; =>This Loop Header: Depth=1
                                        ;     Child Loop BB3_79 Depth 2
                                        ;       Child Loop BB3_83 Depth 3
	s_and_saveexec_b64 s[10:11], s[0:1]
	s_cbranch_execz .LBB3_73
; %bb.75:                               ;   in Loop: Header=BB3_74 Depth=1
	s_mov_b64 s[12:13], 0
	v_mov_b32_e32 v6, v5
	v_mov_b32_e32 v2, v8
	s_branch .LBB3_79
.LBB3_76:                               ;   in Loop: Header=BB3_79 Depth=2
	s_or_b64 exec, exec, s[24:25]
.LBB3_77:                               ;   in Loop: Header=BB3_79 Depth=2
	s_or_b64 exec, exec, s[18:19]
	s_waitcnt lgkmcnt(0)
	ds_write_b32 v7, v10
.LBB3_78:                               ;   in Loop: Header=BB3_79 Depth=2
	s_or_b64 exec, exec, s[14:15]
	v_add_u32_e32 v2, 32, v2
	v_cmp_le_i32_e64 s[6:7], s28, v2
	s_or_b64 s[12:13], s[6:7], s[12:13]
	v_add_u32_e32 v6, 0x80, v6
	s_andn2_b64 exec, exec, s[12:13]
	s_cbranch_execz .LBB3_73
.LBB3_79:                               ;   Parent Loop BB3_74 Depth=1
                                        ; =>  This Loop Header: Depth=2
                                        ;       Child Loop BB3_83 Depth 3
	v_lshlrev_b64 v[10:11], 2, v[2:3]
	v_mov_b32_e32 v7, s17
	v_add_co_u32_e64 v10, s[6:7], s16, v10
	v_addc_co_u32_e64 v11, s[6:7], v7, v11, s[6:7]
	global_load_dword v7, v[10:11], off
	s_waitcnt vmcnt(0)
	v_cmp_ne_u32_e64 s[6:7], 0, v7
	s_and_saveexec_b64 s[14:15], s[6:7]
	s_cbranch_execz .LBB3_78
; %bb.80:                               ;   in Loop: Header=BB3_79 Depth=2
	v_lshl_add_u32 v7, v2, 2, 0
	ds_read_b32 v10, v7
	s_and_saveexec_b64 s[18:19], vcc
	s_cbranch_execz .LBB3_77
; %bb.81:                               ;   in Loop: Header=BB3_79 Depth=2
	s_mov_b64 s[24:25], 0
	v_mov_b32_e32 v11, v6
	v_mov_b32_e32 v12, v4
	;; [unrolled: 1-line block ×3, first 2 shown]
	s_branch .LBB3_83
.LBB3_82:                               ;   in Loop: Header=BB3_83 Depth=3
	s_or_b64 exec, exec, s[8:9]
	ds_bpermute_b32 v14, v1, v14
	v_add_u32_e32 v13, 8, v13
	v_cmp_le_i32_e64 s[6:7], s29, v13
	v_add_u32_e32 v12, s38, v12
	s_or_b64 s[24:25], s[6:7], s[24:25]
	s_waitcnt lgkmcnt(0)
	v_add_u32_e32 v10, v14, v10
	v_add_u32_e32 v11, s39, v11
	s_andn2_b64 exec, exec, s[24:25]
	s_cbranch_execz .LBB3_76
.LBB3_83:                               ;   Parent Loop BB3_74 Depth=1
                                        ;     Parent Loop BB3_79 Depth=2
                                        ; =>    This Inner Loop Header: Depth=3
	ds_read_b32 v15, v11
	s_waitcnt lgkmcnt(0)
	v_cmp_ne_u32_e64 s[6:7], 0, v15
	v_cndmask_b32_e64 v14, 0, 1, s[6:7]
	s_nop 1
	v_mov_b32_dpp v14, v14 row_shr:1 row_mask:0xf bank_mask:0xf bound_ctrl:1
	v_addc_co_u32_e64 v16, s[8:9], 0, v14, s[6:7]
	s_nop 1
	v_mov_b32_dpp v16, v16 row_shr:2 row_mask:0xf bank_mask:0xf bound_ctrl:1
	v_addc_co_u32_e64 v14, s[8:9], v16, v14, s[6:7]
	s_nop 1
	v_add_u32_dpp v14, v14, v14 row_shr:4 row_mask:0xf bank_mask:0xf bound_ctrl:1
	s_nop 1
	v_add_u32_dpp v14, v14, v14 row_shr:8 row_mask:0xf bank_mask:0xf bound_ctrl:1
	s_nop 1
	v_mov_b32_dpp v16, v14 row_newbcast:7 row_mask:0xf bank_mask:0xf bound_ctrl:1
	v_cndmask_b32_e64 v16, v16, 0, s[4:5]
	v_sub_u32_e32 v14, v14, v16
	s_and_saveexec_b64 s[8:9], s[6:7]
	s_cbranch_execz .LBB3_82
; %bb.84:                               ;   in Loop: Header=BB3_83 Depth=3
	v_add_u32_e32 v16, v12, v15
	v_ashrrev_i32_e32 v17, 31, v16
	v_lshlrev_b64 v[16:17], 2, v[16:17]
	v_mov_b32_e32 v18, s35
	v_add_co_u32_e64 v16, s[6:7], s31, v16
	v_addc_co_u32_e64 v17, s[6:7], v18, v17, s[6:7]
	global_load_dword v20, v[16:17], off
	v_add_u32_e32 v16, s26, v13
	v_perm_b32 v15, v15, v16, s41
	v_add_u32_e32 v16, v14, v10
	v_ashrrev_i32_e32 v17, 31, v16
	v_lshlrev_b64 v[16:17], 2, v[16:17]
	v_mov_b32_e32 v19, s30
	v_add_co_u32_e64 v18, s[6:7], s27, v16
	v_add_u32_e32 v15, 0xff000000, v15
	v_addc_co_u32_e64 v19, s[6:7], v19, v17, s[6:7]
	global_store_dword v[18:19], v15, off
	v_mov_b32_e32 v15, s37
	v_add_co_u32_e64 v16, s[6:7], s36, v16
	v_addc_co_u32_e64 v17, s[6:7], v15, v17, s[6:7]
	s_waitcnt vmcnt(1)
	global_store_dword v[16:17], v20, off
	s_branch .LBB3_82
.LBB3_85:
	s_and_saveexec_b64 s[0:1], s[2:3]
	s_cbranch_execz .LBB3_96
; %bb.86:
	s_and_b32 s0, s33, 0xffffff
	s_lshl_b32 s1, s40, 24
	s_or_b32 s4, s0, s1
	s_mov_b32 s5, s4
	s_add_i32 s34, s34, 4
	s_mov_b64 s[2:3], 0
	s_mov_b32 s8, 0
	v_mov_b32_e32 v1, 0
	s_branch .LBB3_88
.LBB3_87:                               ;   in Loop: Header=BB3_88 Depth=1
	s_or_b64 exec, exec, s[12:13]
	v_add_u32_e32 v0, 0x100, v0
	v_cmp_le_i32_e32 vcc, s28, v0
	s_or_b64 s[2:3], vcc, s[2:3]
	s_andn2_b64 exec, exec, s[2:3]
	s_cbranch_execz .LBB3_96
.LBB3_88:                               ; =>This Loop Header: Depth=1
                                        ;     Child Loop BB3_91 Depth 2
                                        ;     Child Loop BB3_95 Depth 2
	v_lshlrev_b32_e32 v2, 2, v0
	v_add_u32_e32 v3, 0, v2
	v_add_u32_e32 v4, s34, v2
	ds_read_b32 v2, v3
	ds_read_b32 v8, v4
	s_waitcnt lgkmcnt(0)
	v_cmp_gt_i32_e32 vcc, v8, v2
	s_and_saveexec_b64 s[12:13], vcc
	s_cbranch_execz .LBB3_87
; %bb.89:                               ;   in Loop: Header=BB3_88 Depth=1
	v_sub_u32_e32 v3, v8, v2
	v_cmp_lt_u32_e32 vcc, 15, v3
	s_mov_b64 s[6:7], -1
	s_and_saveexec_b64 s[0:1], vcc
	s_cbranch_execz .LBB3_93
; %bb.90:                               ;   in Loop: Header=BB3_88 Depth=1
	v_and_b32_e32 v6, -16, v3
	s_mov_b64 s[14:15], 0
	v_mov_b32_e32 v4, v2
	v_mov_b32_e32 v7, v6
.LBB3_91:                               ;   Parent Loop BB3_88 Depth=1
                                        ; =>  This Inner Loop Header: Depth=2
	v_ashrrev_i32_e32 v5, 31, v4
	v_lshlrev_b64 v[14:15], 2, v[4:5]
	v_mov_b32_e32 v5, s21
	v_add_co_u32_e32 v16, vcc, s20, v14
	v_addc_co_u32_e32 v17, vcc, v5, v15, vcc
	s_mov_b32 s6, s4
	s_mov_b32 s7, s5
	v_pk_mov_b32 v[12:13], s[6:7], s[6:7] op_sel:[0,1]
	v_mov_b32_e32 v5, s23
	v_add_co_u32_e32 v14, vcc, s22, v14
	v_pk_mov_b32 v[10:11], s[4:5], s[4:5] op_sel:[0,1]
	v_addc_co_u32_e32 v15, vcc, v5, v15, vcc
	s_mov_b32 s10, s8
	s_mov_b32 s11, s8
	v_add_u32_e32 v7, -16, v7
	global_store_dwordx4 v[16:17], v[10:13], off
	global_store_dwordx4 v[16:17], v[10:13], off offset:16
	global_store_dwordx4 v[16:17], v[10:13], off offset:32
	;; [unrolled: 1-line block ×3, first 2 shown]
	s_mov_b32 s9, s8
	v_pk_mov_b32 v[12:13], s[10:11], s[10:11] op_sel:[0,1]
	v_cmp_eq_u32_e32 vcc, 0, v7
	v_pk_mov_b32 v[10:11], s[8:9], s[8:9] op_sel:[0,1]
	s_or_b64 s[14:15], vcc, s[14:15]
	v_add_u32_e32 v4, 16, v4
	global_store_dwordx4 v[14:15], v[10:13], off
	global_store_dwordx4 v[14:15], v[10:13], off offset:16
	global_store_dwordx4 v[14:15], v[10:13], off offset:32
	;; [unrolled: 1-line block ×3, first 2 shown]
	s_andn2_b64 exec, exec, s[14:15]
	s_cbranch_execnz .LBB3_91
; %bb.92:                               ;   in Loop: Header=BB3_88 Depth=1
	s_or_b64 exec, exec, s[14:15]
	v_cmp_ne_u32_e32 vcc, v3, v6
	v_add_u32_e32 v2, v2, v6
	s_orn2_b64 s[6:7], vcc, exec
.LBB3_93:                               ;   in Loop: Header=BB3_88 Depth=1
	s_or_b64 exec, exec, s[0:1]
	s_and_b64 exec, exec, s[6:7]
	s_cbranch_execz .LBB3_87
; %bb.94:                               ;   in Loop: Header=BB3_88 Depth=1
	v_ashrrev_i32_e32 v3, 31, v2
	v_lshlrev_b64 v[6:7], 2, v[2:3]
	v_mov_b32_e32 v3, s21
	v_add_co_u32_e32 v4, vcc, s20, v6
	v_addc_co_u32_e32 v5, vcc, v3, v7, vcc
	v_mov_b32_e32 v3, s23
	v_add_co_u32_e32 v6, vcc, s22, v6
	v_addc_co_u32_e32 v7, vcc, v3, v7, vcc
	s_mov_b64 s[6:7], 0
.LBB3_95:                               ;   Parent Loop BB3_88 Depth=1
                                        ; =>  This Inner Loop Header: Depth=2
	global_store_dword v[6:7], v1, off
	v_add_co_u32_e32 v6, vcc, 4, v6
	v_mov_b32_e32 v3, s4
	v_add_u32_e32 v2, 1, v2
	v_addc_co_u32_e32 v7, vcc, 0, v7, vcc
	global_store_dword v[4:5], v3, off
	v_cmp_ge_i32_e32 vcc, v2, v8
	v_add_co_u32_e64 v4, s[0:1], 4, v4
	s_or_b64 s[6:7], vcc, s[6:7]
	v_addc_co_u32_e64 v5, vcc, 0, v5, s[0:1]
	s_andn2_b64 exec, exec, s[6:7]
	s_cbranch_execnz .LBB3_95
	s_branch .LBB3_87
.LBB3_96:
	s_endpgm
	.section	.rodata,"a",@progbits
	.p2align	6, 0x0
	.amdhsa_kernel _ZN5aiter22opus_moe_sorting_entryINS_16MoeSortingKernelINS_19MoeSortingProblemExIifLi2ELb1ELb1ELb1ELb1ELi0EEEEENS4_5KargsEEEvT0_
		.amdhsa_group_segment_fixed_size 0
		.amdhsa_private_segment_fixed_size 0
		.amdhsa_kernarg_size 400
		.amdhsa_user_sgpr_count 6
		.amdhsa_user_sgpr_private_segment_buffer 1
		.amdhsa_user_sgpr_dispatch_ptr 0
		.amdhsa_user_sgpr_queue_ptr 0
		.amdhsa_user_sgpr_kernarg_segment_ptr 1
		.amdhsa_user_sgpr_dispatch_id 0
		.amdhsa_user_sgpr_flat_scratch_init 0
		.amdhsa_user_sgpr_kernarg_preload_length 0
		.amdhsa_user_sgpr_kernarg_preload_offset 0
		.amdhsa_user_sgpr_private_segment_size 0
		.amdhsa_uses_dynamic_stack 0
		.amdhsa_system_sgpr_private_segment_wavefront_offset 0
		.amdhsa_system_sgpr_workgroup_id_x 1
		.amdhsa_system_sgpr_workgroup_id_y 0
		.amdhsa_system_sgpr_workgroup_id_z 0
		.amdhsa_system_sgpr_workgroup_info 0
		.amdhsa_system_vgpr_workitem_id 0
		.amdhsa_next_free_vgpr 21
		.amdhsa_next_free_sgpr 46
		.amdhsa_accum_offset 24
		.amdhsa_reserve_vcc 1
		.amdhsa_reserve_flat_scratch 0
		.amdhsa_float_round_mode_32 0
		.amdhsa_float_round_mode_16_64 0
		.amdhsa_float_denorm_mode_32 3
		.amdhsa_float_denorm_mode_16_64 3
		.amdhsa_dx10_clamp 1
		.amdhsa_ieee_mode 1
		.amdhsa_fp16_overflow 0
		.amdhsa_tg_split 0
		.amdhsa_exception_fp_ieee_invalid_op 0
		.amdhsa_exception_fp_denorm_src 0
		.amdhsa_exception_fp_ieee_div_zero 0
		.amdhsa_exception_fp_ieee_overflow 0
		.amdhsa_exception_fp_ieee_underflow 0
		.amdhsa_exception_fp_ieee_inexact 0
		.amdhsa_exception_int_div_zero 0
	.end_amdhsa_kernel
	.section	.text._ZN5aiter22opus_moe_sorting_entryINS_16MoeSortingKernelINS_19MoeSortingProblemExIifLi2ELb1ELb1ELb1ELb1ELi0EEEEENS4_5KargsEEEvT0_,"axG",@progbits,_ZN5aiter22opus_moe_sorting_entryINS_16MoeSortingKernelINS_19MoeSortingProblemExIifLi2ELb1ELb1ELb1ELb1ELi0EEEEENS4_5KargsEEEvT0_,comdat
.Lfunc_end3:
	.size	_ZN5aiter22opus_moe_sorting_entryINS_16MoeSortingKernelINS_19MoeSortingProblemExIifLi2ELb1ELb1ELb1ELb1ELi0EEEEENS4_5KargsEEEvT0_, .Lfunc_end3-_ZN5aiter22opus_moe_sorting_entryINS_16MoeSortingKernelINS_19MoeSortingProblemExIifLi2ELb1ELb1ELb1ELb1ELi0EEEEENS4_5KargsEEEvT0_
                                        ; -- End function
	.section	.AMDGPU.csdata,"",@progbits
; Kernel info:
; codeLenInByte = 4180
; NumSgprs: 50
; NumVgprs: 21
; NumAgprs: 0
; TotalNumVgprs: 21
; ScratchSize: 0
; MemoryBound: 0
; FloatMode: 240
; IeeeMode: 1
; LDSByteSize: 0 bytes/workgroup (compile time only)
; SGPRBlocks: 6
; VGPRBlocks: 2
; NumSGPRsForWavesPerEU: 50
; NumVGPRsForWavesPerEU: 21
; AccumOffset: 24
; Occupancy: 8
; WaveLimiterHint : 1
; COMPUTE_PGM_RSRC2:SCRATCH_EN: 0
; COMPUTE_PGM_RSRC2:USER_SGPR: 6
; COMPUTE_PGM_RSRC2:TRAP_HANDLER: 0
; COMPUTE_PGM_RSRC2:TGID_X_EN: 1
; COMPUTE_PGM_RSRC2:TGID_Y_EN: 0
; COMPUTE_PGM_RSRC2:TGID_Z_EN: 0
; COMPUTE_PGM_RSRC2:TIDIG_COMP_CNT: 0
; COMPUTE_PGM_RSRC3_GFX90A:ACCUM_OFFSET: 5
; COMPUTE_PGM_RSRC3_GFX90A:TG_SPLIT: 0
	.section	.text._ZN5aiter22opus_moe_sorting_entryINS_16MoeSortingKernelINS_19MoeSortingProblemExIifLi1ELb1ELb1ELb1ELb1ELi0EEEEENS4_5KargsEEEvT0_,"axG",@progbits,_ZN5aiter22opus_moe_sorting_entryINS_16MoeSortingKernelINS_19MoeSortingProblemExIifLi1ELb1ELb1ELb1ELb1ELi0EEEEENS4_5KargsEEEvT0_,comdat
	.protected	_ZN5aiter22opus_moe_sorting_entryINS_16MoeSortingKernelINS_19MoeSortingProblemExIifLi1ELb1ELb1ELb1ELb1ELi0EEEEENS4_5KargsEEEvT0_ ; -- Begin function _ZN5aiter22opus_moe_sorting_entryINS_16MoeSortingKernelINS_19MoeSortingProblemExIifLi1ELb1ELb1ELb1ELb1ELi0EEEEENS4_5KargsEEEvT0_
	.globl	_ZN5aiter22opus_moe_sorting_entryINS_16MoeSortingKernelINS_19MoeSortingProblemExIifLi1ELb1ELb1ELb1ELb1ELi0EEEEENS4_5KargsEEEvT0_
	.p2align	8
	.type	_ZN5aiter22opus_moe_sorting_entryINS_16MoeSortingKernelINS_19MoeSortingProblemExIifLi1ELb1ELb1ELb1ELb1ELi0EEEEENS4_5KargsEEEvT0_,@function
_ZN5aiter22opus_moe_sorting_entryINS_16MoeSortingKernelINS_19MoeSortingProblemExIifLi1ELb1ELb1ELb1ELb1ELi0EEEEENS4_5KargsEEEvT0_: ; @_ZN5aiter22opus_moe_sorting_entryINS_16MoeSortingKernelINS_19MoeSortingProblemExIifLi1ELb1ELb1ELb1ELb1ELi0EEEEENS4_5KargsEEEvT0_
; %bb.0:
	s_load_dwordx16 s[12:27], s[4:5], 0x0
	s_load_dwordx4 s[8:11], s[4:5], 0x40
	s_load_dwordx4 s[28:31], s[4:5], 0x54
	s_cmp_eq_u32 s6, 0
	s_waitcnt lgkmcnt(0)
	s_load_dword s33, s[18:19], 0x0
	s_cbranch_scc1 .LBB4_7
; %bb.1:
	s_cmp_eq_u64 s[8:9], 0
	s_mov_b64 s[2:3], 0
	s_cbranch_scc1 .LBB4_6
; %bb.2:
	s_waitcnt lgkmcnt(0)
	s_ashr_i32 s0, s33, 31
	s_mul_i32 s7, s30, s29
	s_mul_hi_i32 s1, s30, s29
	s_mul_i32 s0, s7, s0
	s_mul_hi_u32 s18, s7, s33
	s_add_i32 s0, s18, s0
	s_mul_i32 s1, s1, s33
	s_add_i32 s1, s0, s1
	s_mul_i32 s0, s7, s33
	s_ashr_i32 s7, s1, 31
	s_lshr_b32 s18, s7, 28
	s_add_u32 s0, s0, s18
	s_addc_u32 s1, s1, 0
	v_lshl_add_u32 v1, s6, 8, v0
	s_ashr_i64 s[18:19], s[0:1], 4
	v_add_u32_e32 v2, 0xffffff00, v1
	v_mov_b32_e32 v3, 0
	s_mov_b32 s7, 0
	v_cmp_gt_i64_e32 vcc, s[18:19], v[2:3]
	s_and_saveexec_b64 s[30:31], vcc
	s_cbranch_execz .LBB4_5
; %bb.3:
	s_load_dword s0, s[4:5], 0x90
	v_lshlrev_b64 v[4:5], 4, v[2:3]
	v_mov_b32_e32 v1, s9
	v_add_co_u32_e32 v8, vcc, s8, v4
	s_waitcnt lgkmcnt(0)
	s_lshl_b32 s0, s0, 8
	s_add_i32 s6, s0, 0xffffff00
	s_lshl_b64 s[8:9], s[6:7], 4
	v_pk_mov_b32 v[6:7], v[2:3], v[2:3] op_sel:[0,1]
	v_addc_co_u32_e32 v9, vcc, v1, v5, vcc
	s_mov_b64 s[34:35], 0
	v_mov_b32_e32 v2, v3
	v_mov_b32_e32 v4, v3
	;; [unrolled: 1-line block ×5, first 2 shown]
.LBB4_4:                                ; =>This Inner Loop Header: Depth=1
	v_add_co_u32_e32 v6, vcc, s6, v6
	v_addc_co_u32_e32 v7, vcc, v7, v1, vcc
	global_store_dwordx4 v[8:9], v[2:5], off
	v_add_co_u32_e32 v8, vcc, s8, v8
	v_cmp_le_i64_e64 s[0:1], s[18:19], v[6:7]
	s_or_b64 s[34:35], s[0:1], s[34:35]
	v_addc_co_u32_e32 v9, vcc, v9, v10, vcc
	s_andn2_b64 exec, exec, s[34:35]
	s_cbranch_execnz .LBB4_4
.LBB4_5:
	s_or_b64 exec, exec, s[30:31]
.LBB4_6:
	s_andn2_b64 vcc, exec, s[2:3]
	s_cbranch_vccz .LBB4_8
	s_branch .LBB4_96
.LBB4_7:
.LBB4_8:
	s_load_dwordx8 s[36:43], s[4:5], 0x64
	s_load_dwordx2 s[0:1], s[4:5], 0x84
	v_lshrrev_b32_e32 v1, 6, v0
	v_readfirstlane_b32 s35, v1
	s_add_i32 s44, s28, 1
	s_waitcnt lgkmcnt(0)
	s_add_i32 s29, s36, -2
	s_mul_i32 s18, s29, s28
	v_cmp_gt_i32_e32 vcc, s18, v0
	s_and_saveexec_b64 s[2:3], vcc
	s_cbranch_execz .LBB4_18
; %bb.9:
	v_xad_u32 v2, v0, -1, s18
	s_movk_i32 s6, 0xff
	s_mov_b32 s5, 0
	s_mov_b32 s4, s0
	s_sub_i32 s0, s44, s43
	v_cmp_lt_u32_e32 vcc, s6, v2
	s_mov_b64 s[8:9], 0
                                        ; implicit-def: $vgpr1
                                        ; implicit-def: $sgpr19
	s_and_saveexec_b64 s[6:7], vcc
	s_xor_b64 s[6:7], exec, s[6:7]
	s_cbranch_execnz .LBB4_12
; %bb.10:
	s_or_saveexec_b64 s[6:7], s[6:7]
	v_mov_b32_e32 v2, s19
	s_xor_b64 exec, exec, s[6:7]
	s_cbranch_execnz .LBB4_15
.LBB4_11:
	s_or_b64 exec, exec, s[6:7]
	s_and_b64 exec, exec, s[8:9]
	s_cbranch_execnz .LBB4_16
	s_branch .LBB4_18
.LBB4_12:
	v_lshrrev_b32_e32 v1, 8, v2
	v_add_u32_e32 v4, 1, v1
	s_lshl_b32 s19, s28, 3
	v_and_b32_e32 v5, 0x1fffffe, v4
	v_add_u32_e32 v1, 0x100, v0
	s_add_i32 s8, s19, 0
	s_mov_b32 s30, s4
	s_mov_b32 s31, s1
	;; [unrolled: 1-line block ×3, first 2 shown]
	v_lshl_add_u32 v6, v0, 2, s8
	s_mov_b64 s[8:9], 0
	v_mov_b32_e32 v7, 0
	v_mov_b32_e32 v8, v5
	v_pk_mov_b32 v[2:3], v[0:1], v[0:1] op_sel:[0,1]
.LBB4_13:                               ; =>This Inner Loop Header: Depth=1
	v_mul_hi_u32 v1, s4, v2
	v_mul_hi_u32 v9, s30, v3
	v_add_u32_e32 v9, v3, v9
	v_add_u32_e32 v1, v2, v1
	v_add_u32_e32 v8, -2, v8
	v_lshrrev_b32_e32 v1, s31, v1
	v_lshrrev_b32_e32 v9, s1, v9
	v_cmp_eq_u32_e32 vcc, 0, v8
	v_mul_lo_u32 v9, v9, s34
	v_mul_lo_u32 v1, v1, s0
	v_add_u32_e32 v3, 0x200, v3
	v_add_u32_e32 v2, 0x200, v2
	s_or_b64 s[8:9], vcc, s[8:9]
	v_lshl_add_u32 v1, v1, 2, v6
	v_lshl_add_u32 v9, v9, 2, v6
	v_add_u32_e32 v6, 0x800, v6
	ds_write_b32 v1, v7 offset:8
	ds_write_b32 v9, v7 offset:1032
	s_andn2_b64 exec, exec, s[8:9]
	s_cbranch_execnz .LBB4_13
; %bb.14:
	s_or_b64 exec, exec, s[8:9]
	v_cmp_ne_u32_e32 vcc, v4, v5
	v_lshl_add_u32 v1, v5, 8, v0
	s_and_b64 s[8:9], vcc, exec
	s_or_saveexec_b64 s[6:7], s[6:7]
	v_mov_b32_e32 v2, s19
	s_xor_b64 exec, exec, s[6:7]
	s_cbranch_execz .LBB4_11
.LBB4_15:
	s_lshl_b32 s19, s28, 3
	v_mov_b32_e32 v2, s19
	s_or_b64 s[8:9], s[8:9], exec
	v_mov_b32_e32 v1, v0
	s_or_b64 exec, exec, s[6:7]
	s_and_b64 exec, exec, s[8:9]
	s_cbranch_execz .LBB4_18
.LBB4_16:
	v_lshl_add_u32 v2, v1, 2, v2
	v_mad_u64_u32 v[4:5], s[6:7], v1, s4, 0
	s_lshl_b64 s[4:5], s[4:5], 8
	s_lshl_b32 s0, s0, 2
	v_add3_u32 v2, v2, 0, 8
	s_mov_b64 s[6:7], 0
	v_mov_b32_e32 v3, 0
	v_mov_b32_e32 v6, s5
.LBB4_17:                               ; =>This Inner Loop Header: Depth=1
	v_add_co_u32_e32 v4, vcc, s4, v4
	v_add_u32_e32 v7, v1, v5
	v_add_u32_e32 v1, 0x100, v1
	v_addc_co_u32_e32 v5, vcc, v5, v6, vcc
	v_lshrrev_b32_e32 v7, s1, v7
	v_cmp_le_i32_e32 vcc, s18, v1
	v_mad_u64_u32 v[8:9], s[8:9], s0, v7, v[2:3]
	v_add_u32_e32 v2, 0x400, v2
	s_or_b64 s[6:7], vcc, s[6:7]
	ds_write_b32 v8, v3
	s_andn2_b64 exec, exec, s[6:7]
	s_cbranch_execnz .LBB4_17
.LBB4_18:
	s_or_b64 exec, exec, s[2:3]
	s_cmp_gt_i32 s33, 0
	s_mov_b32 s3, 0
	s_cselect_b64 s[18:19], -1, 0
	s_cmp_lt_i32 s33, 1
	s_mul_i32 s34, s40, s29
	s_waitcnt lgkmcnt(0)
	s_barrier
	s_cbranch_scc1 .LBB4_26
; %bb.19:
	s_lshl_b32 s0, s44, 3
	s_mov_b32 s2, s41
	s_add_i32 s43, s0, 0
	v_cmp_gt_i32_e32 vcc, s34, v0
	s_sub_i32 s45, 0, s40
	v_mad_u64_u32 v[2:3], s[0:1], v0, s41, 0
	s_lshl_b64 s[4:5], s[2:3], 8
	v_mov_b32_e32 v5, 0
	s_mov_b32 s2, 0
	s_branch .LBB4_21
.LBB4_20:                               ;   in Loop: Header=BB4_21 Depth=1
	s_or_b64 exec, exec, s[6:7]
	s_add_i32 s2, s2, s29
	s_add_i32 s3, s3, s34
	s_cmp_ge_i32 s2, s33
	s_barrier
	s_cbranch_scc1 .LBB4_26
.LBB4_21:                               ; =>This Loop Header: Depth=1
                                        ;     Child Loop BB4_24 Depth 2
	s_and_saveexec_b64 s[6:7], vcc
	s_cbranch_execz .LBB4_20
; %bb.22:                               ;   in Loop: Header=BB4_21 Depth=1
	s_mov_b64 s[8:9], 0
	v_pk_mov_b32 v[6:7], v[2:3], v[2:3] op_sel:[0,1]
	v_mov_b32_e32 v1, v0
	s_branch .LBB4_24
.LBB4_23:                               ;   in Loop: Header=BB4_24 Depth=2
	s_or_b64 exec, exec, s[30:31]
	v_add_u32_e32 v1, 0x100, v1
	v_cmp_le_i32_e64 s[0:1], s34, v1
	v_mov_b32_e32 v4, s5
	s_or_b64 s[8:9], s[0:1], s[8:9]
	v_add_co_u32_e64 v6, s[0:1], s4, v6
	v_addc_co_u32_e64 v7, s[0:1], v7, v4, s[0:1]
	s_waitcnt lgkmcnt(0)
	s_andn2_b64 exec, exec, s[8:9]
	s_cbranch_execz .LBB4_20
.LBB4_24:                               ;   Parent Loop BB4_21 Depth=1
                                        ; =>  This Inner Loop Header: Depth=2
	v_add_u32_e32 v4, v1, v7
	v_lshrrev_b32_e32 v8, s42, v4
	v_add_u32_e32 v4, s2, v8
	v_cmp_gt_i32_e64 s[0:1], s33, v4
	s_and_saveexec_b64 s[30:31], s[0:1]
	s_cbranch_execz .LBB4_23
; %bb.25:                               ;   in Loop: Header=BB4_24 Depth=2
	v_add_u32_e32 v4, s3, v1
	v_lshlrev_b64 v[10:11], 2, v[4:5]
	v_mov_b32_e32 v4, s13
	v_add_co_u32_e64 v10, s[0:1], s12, v10
	v_addc_co_u32_e64 v11, s[0:1], v4, v11, s[0:1]
	global_load_dword v4, v[10:11], off
	v_mul_lo_u32 v9, s45, v8
	v_mul_lo_u32 v8, v8, s44
	v_lshlrev_b32_e32 v8, 2, v8
	v_add3_u32 v9, v1, v9, 1
	s_waitcnt vmcnt(0)
	v_lshlrev_b32_e32 v4, 2, v4
	v_add3_u32 v4, s43, v4, v8
	ds_write_b32 v4, v9
	s_branch .LBB4_23
.LBB4_26:
	v_cmp_eq_u32_e32 vcc, 0, v0
	s_and_saveexec_b64 s[0:1], vcc
	s_cbranch_execz .LBB4_28
; %bb.27:
	v_mov_b32_e32 v1, 0
	ds_write_b32 v1, v1
.LBB4_28:
	s_or_b64 exec, exec, s[0:1]
	v_mbcnt_lo_u32_b32 v1, -1, 0
	v_and_b32_e32 v9, 7, v0
	v_mbcnt_hi_u32_b32 v12, -1, v1
	v_lshrrev_b32_e32 v8, 3, v0
	v_mul_lo_u32 v1, s44, v9
	v_cmp_gt_i32_e64 s[0:1], s28, v8
	v_lshlrev_b32_e32 v10, 2, v1
	v_lshlrev_b32_e32 v11, 2, v8
	s_and_saveexec_b64 s[8:9], s[0:1]
	s_cbranch_execz .LBB4_36
; %bb.29:
	s_cmp_gt_i32 s36, 2
	s_cselect_b64 s[4:5], -1, 0
	s_lshl_b32 s6, s28, 3
	v_lshlrev_b32_e32 v3, 2, v12
	v_add3_u32 v4, v10, s6, v11
	s_lshl_b32 s36, s28, 5
	v_cndmask_b32_e64 v5, 0, 1, s[4:5]
	v_xor_b32_e32 v1, 4, v3
	v_xor_b32_e32 v2, 8, v3
	;; [unrolled: 1-line block ×3, first 2 shown]
	v_cmp_eq_u32_e64 s[2:3], 0, v9
	v_add3_u32 v4, v4, 0, 8
	s_add_i32 s36, s36, 32
	s_mov_b64 s[30:31], 0
	v_cmp_ne_u32_e64 s[4:5], 1, v5
	v_mov_b32_e32 v5, v8
	s_branch .LBB4_31
.LBB4_30:                               ;   in Loop: Header=BB4_31 Depth=1
	s_or_b64 exec, exec, s[6:7]
	v_add_u32_e32 v5, 32, v5
	v_cmp_le_i32_e32 vcc, s28, v5
	s_or_b64 s[30:31], vcc, s[30:31]
	v_add_u32_e32 v4, 0x80, v4
	s_andn2_b64 exec, exec, s[30:31]
	s_cbranch_execz .LBB4_36
.LBB4_31:                               ; =>This Loop Header: Depth=1
                                        ;     Child Loop BB4_33 Depth 2
	s_and_b64 vcc, exec, s[4:5]
	v_mov_b32_e32 v6, 0
	s_cbranch_vccnz .LBB4_34
; %bb.32:                               ;   in Loop: Header=BB4_31 Depth=1
	s_mov_b32 s41, 0
	v_mov_b32_e32 v6, 0
	v_mov_b32_e32 v7, v4
.LBB4_33:                               ;   Parent Loop BB4_31 Depth=1
                                        ; =>  This Inner Loop Header: Depth=2
	ds_read_b32 v13, v7
	s_add_i32 s41, s41, 8
	v_add_u32_e32 v7, s36, v7
	s_cmp_ge_i32 s41, s29
	s_waitcnt lgkmcnt(0)
	v_cmp_ne_u32_e32 vcc, 0, v13
	v_cndmask_b32_e64 v13, 0, 1, vcc
	ds_bpermute_b32 v13, v1, v13
	s_waitcnt lgkmcnt(0)
	v_addc_co_u32_e64 v14, s[6:7], 0, v13, vcc
	ds_bpermute_b32 v14, v2, v14
	s_waitcnt lgkmcnt(0)
	v_addc_co_u32_e32 v13, vcc, v14, v13, vcc
	ds_bpermute_b32 v14, v3, v13
	s_waitcnt lgkmcnt(0)
	v_add3_u32 v6, v14, v6, v13
	s_cbranch_scc0 .LBB4_33
.LBB4_34:                               ;   in Loop: Header=BB4_31 Depth=1
	s_and_saveexec_b64 s[6:7], s[2:3]
	s_cbranch_execz .LBB4_30
; %bb.35:                               ;   in Loop: Header=BB4_31 Depth=1
	v_lshl_add_u32 v7, v5, 2, 0
	ds_write_b32 v7, v6 offset:4
	s_branch .LBB4_30
.LBB4_36:
	s_or_b64 exec, exec, s[8:9]
	s_lshl_b32 s41, s28, 2
	s_add_i32 s42, s41, 0
	v_mov_b32_e32 v1, 0
	v_mov_b32_e32 v2, s42
	v_cmp_gt_i32_e64 s[2:3], s28, v0
	ds_write_b32 v2, v1 offset:4
	s_and_saveexec_b64 s[4:5], s[2:3]
	s_cbranch_execz .LBB4_46
; %bb.37:
	v_xad_u32 v1, v0, -1, s28
	s_movk_i32 s6, 0xff
	v_cmp_lt_u32_e32 vcc, s6, v1
	s_mov_b64 s[8:9], 0
                                        ; implicit-def: $vgpr2
	s_and_saveexec_b64 s[6:7], vcc
	s_xor_b64 s[6:7], exec, s[6:7]
	s_cbranch_execnz .LBB4_40
; %bb.38:
	s_or_saveexec_b64 s[6:7], s[6:7]
	v_mov_b32_e32 v1, s41
	s_xor_b64 exec, exec, s[6:7]
	s_cbranch_execnz .LBB4_43
.LBB4_39:
	s_or_b64 exec, exec, s[6:7]
	s_and_b64 exec, exec, s[8:9]
	s_cbranch_execnz .LBB4_44
	s_branch .LBB4_46
.LBB4_40:
	v_lshrrev_b32_e32 v1, 8, v1
	v_add_u32_e32 v6, 1, v1
	v_and_b32_e32 v7, 0x1fffffe, v6
	v_add_u32_e32 v1, 0x100, v0
	v_lshlrev_b32_e32 v2, 2, v0
	v_add3_u32 v13, s42, v2, 8
	v_mov_b32_e32 v14, s17
	v_mov_b32_e32 v3, 0
	;; [unrolled: 1-line block ×3, first 2 shown]
	v_pk_mov_b32 v[4:5], v[0:1], v[0:1] op_sel:[0,1]
.LBB4_41:                               ; =>This Inner Loop Header: Depth=1
	v_mov_b32_e32 v2, v4
	v_lshlrev_b64 v[16:17], 2, v[2:3]
	v_mov_b32_e32 v2, v5
	v_add_co_u32_e32 v16, vcc, s16, v16
	v_addc_co_u32_e32 v17, vcc, v14, v17, vcc
	v_lshlrev_b64 v[18:19], 2, v[2:3]
	v_add_co_u32_e32 v18, vcc, s16, v18
	v_addc_co_u32_e32 v19, vcc, v14, v19, vcc
	global_load_dword v1, v[16:17], off
	global_load_dword v2, v[18:19], off
	v_add_u32_e32 v15, -2, v15
	v_cmp_eq_u32_e32 vcc, 0, v15
	v_add_u32_e32 v4, 0x200, v4
	v_add_u32_e32 v5, 0x200, v5
	s_or_b64 s[8:9], vcc, s[8:9]
	s_waitcnt vmcnt(0)
	ds_write2st64_b32 v13, v1, v2 offset1:4
	v_add_u32_e32 v13, 0x800, v13
	s_andn2_b64 exec, exec, s[8:9]
	s_cbranch_execnz .LBB4_41
; %bb.42:
	s_or_b64 exec, exec, s[8:9]
	v_cmp_ne_u32_e32 vcc, v6, v7
	v_lshl_add_u32 v2, v7, 8, v0
	s_and_b64 s[8:9], vcc, exec
	s_or_saveexec_b64 s[6:7], s[6:7]
	v_mov_b32_e32 v1, s41
	s_xor_b64 exec, exec, s[6:7]
	s_cbranch_execz .LBB4_39
.LBB4_43:
	v_mov_b32_e32 v1, s41
	s_or_b64 s[8:9], s[8:9], exec
	v_mov_b32_e32 v2, v0
	s_or_b64 exec, exec, s[6:7]
	s_and_b64 exec, exec, s[8:9]
	s_cbranch_execz .LBB4_46
.LBB4_44:
	v_mov_b32_e32 v3, 0
	v_lshlrev_b64 v[4:5], 2, v[2:3]
	v_lshl_add_u32 v1, v2, 2, v1
	v_mov_b32_e32 v3, s17
	v_add_co_u32_e32 v4, vcc, s16, v4
	v_add3_u32 v1, v1, 0, 8
	v_addc_co_u32_e32 v5, vcc, v3, v5, vcc
	s_mov_b64 s[6:7], 0
.LBB4_45:                               ; =>This Inner Loop Header: Depth=1
	global_load_dword v3, v[4:5], off
	v_add_co_u32_e32 v4, vcc, 0x400, v4
	v_add_u32_e32 v2, 0x100, v2
	v_addc_co_u32_e32 v5, vcc, 0, v5, vcc
	v_cmp_le_i32_e32 vcc, s28, v2
	s_or_b64 s[6:7], vcc, s[6:7]
	s_waitcnt vmcnt(0)
	ds_write_b32 v1, v3
	v_add_u32_e32 v1, 0x400, v1
	s_andn2_b64 exec, exec, s[6:7]
	s_cbranch_execnz .LBB4_45
.LBB4_46:
	s_or_b64 exec, exec, s[4:5]
	s_add_i32 s36, s42, 4
	s_cmp_lg_u32 s35, 0
	s_waitcnt lgkmcnt(0)
	s_barrier
	s_cbranch_scc1 .LBB4_57
; %bb.47:
	s_mov_b32 s35, 0
	s_cmp_lt_i32 s28, 1
	v_mov_b32_e32 v2, 0
	s_cbranch_scc1 .LBB4_54
; %bb.48:
	v_lshlrev_b32_e32 v2, 2, v12
	v_and_b32_e32 v3, 0xc0, v2
	v_cmp_eq_u32_e32 vcc, 0, v12
	s_add_i32 s43, s37, -1
	v_add_u32_e32 v1, -4, v3
	v_cmp_lt_u32_e64 s[4:5], 15, v12
	v_add_u32_e32 v3, 0xffffffbc, v3
	v_cmp_lt_u32_e64 s[6:7], 31, v12
	v_add_u32_e32 v4, 0, v2
	s_branch .LBB4_50
.LBB4_49:                               ;   in Loop: Header=BB4_50 Depth=1
	s_or_b64 exec, exec, s[30:31]
	s_add_i32 s35, s35, 64
	s_cmp_lt_i32 s35, s28
	v_add_u32_e32 v4, 0x100, v4
	s_waitcnt lgkmcnt(0)
	s_cbranch_scc0 .LBB4_54
.LBB4_50:                               ; =>This Inner Loop Header: Depth=1
	ds_read_b32 v7, v4 offset:4
	v_mov_b32_e32 v2, s35
	v_add_u32_e32 v5, s41, v4
	ds_read_b32 v6, v5 offset:8
	v_cndmask_b32_e32 v2, 0, v2, vcc
	s_waitcnt lgkmcnt(1)
	v_add_u32_e32 v7, s43, v7
	v_lshlrev_b32_e32 v2, 2, v2
	v_mul_hi_u32 v14, v7, s38
	v_add_u32_e32 v13, 0, v2
	v_add_u32_e32 v7, v7, v14
	v_lshrrev_b32_e32 v14, s39, v7
	v_add_u32_e32 v2, s36, v2
	ds_read_b32 v13, v13
	ds_read_b32 v7, v2
	v_mul_lo_u32 v2, v14, s37
	s_waitcnt lgkmcnt(2)
	v_cmp_ne_u32_e64 s[8:9], 0, v6
	v_cndmask_b32_e64 v2, 0, v2, s[8:9]
	s_waitcnt lgkmcnt(1)
	v_add_u32_e32 v2, v2, v13
	v_add_u32_e32 v14, s35, v12
	v_cmp_gt_i32_e64 s[8:9], s28, v14
	v_add_u32_dpp v2, v2, v2 row_shr:1 row_mask:0xf bank_mask:0xf bound_ctrl:1
	s_nop 1
	v_add_u32_dpp v2, v2, v2 row_shr:2 row_mask:0xf bank_mask:0xf bound_ctrl:1
	s_nop 1
	;; [unrolled: 2-line block ×3, first 2 shown]
	v_add_u32_dpp v2, v2, v2 row_shr:8 row_mask:0xf bank_mask:0xf bound_ctrl:1
	ds_bpermute_b32 v13, v1, v2
	s_waitcnt lgkmcnt(0)
	v_cndmask_b32_e64 v13, 0, v13, s[4:5]
	v_add_u32_e32 v2, v2, v13
	ds_bpermute_b32 v13, v3, v2
	s_waitcnt lgkmcnt(0)
	v_cndmask_b32_e64 v13, 0, v13, s[6:7]
	v_add_u32_e32 v2, v2, v13
	s_and_saveexec_b64 s[30:31], s[8:9]
	s_cbranch_execz .LBB4_52
; %bb.51:                               ;   in Loop: Header=BB4_50 Depth=1
	ds_write_b32 v4, v2 offset:4
.LBB4_52:                               ;   in Loop: Header=BB4_50 Depth=1
	s_or_b64 exec, exec, s[30:31]
	v_add_u32_e32 v6, v6, v7
	s_nop 1
	v_add_u32_dpp v6, v6, v6 row_shr:1 row_mask:0xf bank_mask:0xf bound_ctrl:1
	s_nop 1
	v_add_u32_dpp v6, v6, v6 row_shr:2 row_mask:0xf bank_mask:0xf bound_ctrl:1
	;; [unrolled: 2-line block ×4, first 2 shown]
	ds_bpermute_b32 v7, v1, v6
	s_waitcnt lgkmcnt(0)
	v_cndmask_b32_e64 v7, 0, v7, s[4:5]
	v_add_u32_e32 v6, v7, v6
	ds_bpermute_b32 v7, v3, v6
	s_and_saveexec_b64 s[30:31], s[8:9]
	s_cbranch_execz .LBB4_49
; %bb.53:                               ;   in Loop: Header=BB4_50 Depth=1
	s_waitcnt lgkmcnt(0)
	v_cndmask_b32_e64 v7, 0, v7, s[6:7]
	v_add_u32_e32 v6, v7, v6
	ds_write_b32 v5, v6 offset:8
	s_branch .LBB4_49
.LBB4_54:
	v_add_u32_e32 v1, s35, v12
	v_subrev_u32_e32 v1, 63, v1
	v_cmp_eq_u32_e32 vcc, s28, v1
	s_and_saveexec_b64 s[4:5], vcc
	s_cbranch_execz .LBB4_56
; %bb.55:
	v_mov_b32_e32 v1, 0
	v_mov_b32_e32 v3, s33
	global_store_dwordx2 v1, v[2:3], s[26:27]
.LBB4_56:
	s_or_b64 exec, exec, s[4:5]
.LBB4_57:
	s_cmp_eq_u64 s[10:11], 0
	s_barrier
	s_cbranch_scc1 .LBB4_64
; %bb.58:
	s_mul_i32 s26, s33, s40
	v_cmp_gt_i32_e32 vcc, s26, v0
	s_and_saveexec_b64 s[6:7], vcc
	s_cbranch_execz .LBB4_63
; %bb.59:
	v_lshlrev_b32_e32 v1, 2, v0
	v_mov_b32_e32 v3, s13
	v_add_co_u32_e32 v2, vcc, s12, v1
	v_addc_co_u32_e32 v3, vcc, 0, v3, vcc
	v_mov_b32_e32 v5, s11
	v_add_co_u32_e32 v4, vcc, s10, v1
	v_addc_co_u32_e32 v5, vcc, 0, v5, vcc
	s_mov_b64 s[8:9], 0
	v_mov_b32_e32 v1, s17
	v_mov_b32_e32 v13, v0
	s_branch .LBB4_61
.LBB4_60:                               ;   in Loop: Header=BB4_61 Depth=1
	s_or_b64 exec, exec, s[4:5]
	v_add_co_u32_e32 v2, vcc, 0x400, v2
	v_add_u32_e32 v13, 0x100, v13
	v_addc_co_u32_e32 v3, vcc, 0, v3, vcc
	s_waitcnt lgkmcnt(0)
	global_store_dword v[4:5], v7, off
	v_add_co_u32_e32 v4, vcc, 0x400, v4
	v_cmp_le_i32_e64 s[4:5], s26, v13
	s_or_b64 s[8:9], s[4:5], s[8:9]
	v_addc_co_u32_e32 v5, vcc, 0, v5, vcc
	s_andn2_b64 exec, exec, s[8:9]
	s_cbranch_execz .LBB4_63
.LBB4_61:                               ; =>This Inner Loop Header: Depth=1
	global_load_dword v6, v[2:3], off
	s_waitcnt vmcnt(0)
	v_ashrrev_i32_e32 v7, 31, v6
	v_lshlrev_b64 v[14:15], 2, v[6:7]
	v_add_co_u32_e32 v14, vcc, s16, v14
	v_addc_co_u32_e32 v15, vcc, v1, v15, vcc
	global_load_dword v7, v[14:15], off
	s_waitcnt vmcnt(0)
	v_cmp_ne_u32_e32 vcc, 0, v7
	v_mov_b32_e32 v7, -1
	s_and_saveexec_b64 s[4:5], vcc
	s_cbranch_execz .LBB4_60
; %bb.62:                               ;   in Loop: Header=BB4_61 Depth=1
	v_lshl_add_u32 v6, v6, 2, s36
	ds_read_b32 v7, v6
	s_branch .LBB4_60
.LBB4_63:
	s_or_b64 exec, exec, s[6:7]
	s_barrier
.LBB4_64:
	s_and_saveexec_b64 s[6:7], s[2:3]
	s_cbranch_execz .LBB4_71
; %bb.65:
	s_mov_b64 s[8:9], 0
	v_mov_b32_e32 v3, 0
	v_mov_b32_e32 v4, v0
	s_branch .LBB4_67
.LBB4_66:                               ;   in Loop: Header=BB4_67 Depth=1
	s_or_b64 exec, exec, s[10:11]
	v_add_u32_e32 v4, 0x100, v4
	v_cmp_le_i32_e32 vcc, s28, v4
	s_or_b64 s[8:9], vcc, s[8:9]
	s_andn2_b64 exec, exec, s[8:9]
	s_cbranch_execz .LBB4_71
.LBB4_67:                               ; =>This Loop Header: Depth=1
                                        ;     Child Loop BB4_70 Depth 2
	s_waitcnt lgkmcnt(1)
	v_lshlrev_b32_e32 v1, 2, v4
	v_add_u32_e32 v2, 0, v1
	ds_read2_b32 v[6:7], v2 offset1:1
	v_add_u32_e32 v2, s36, v1
	ds_read_b32 v1, v2
	s_waitcnt lgkmcnt(1)
	v_cmp_ne_u32_e32 vcc, v6, v7
	ds_write_b32 v2, v6
	s_and_saveexec_b64 s[10:11], vcc
	s_cbranch_execz .LBB4_66
; %bb.68:                               ;   in Loop: Header=BB4_67 Depth=1
	v_mov_b32_e32 v5, v3
	v_lshlrev_b64 v[14:15], 2, v[4:5]
	v_mov_b32_e32 v2, s17
	v_add_co_u32_e32 v14, vcc, s16, v14
	v_addc_co_u32_e32 v15, vcc, v2, v15, vcc
	global_load_dword v2, v[14:15], off
	v_cmp_lt_i32_e64 s[4:5], v6, v7
	s_waitcnt vmcnt(0)
	v_cmp_ne_u32_e32 vcc, 0, v2
	s_and_b64 s[4:5], s[4:5], vcc
	s_and_b64 exec, exec, s[4:5]
	s_cbranch_execz .LBB4_66
; %bb.69:                               ;   in Loop: Header=BB4_67 Depth=1
	s_mov_b64 s[4:5], 0
.LBB4_70:                               ;   Parent Loop BB4_67 Depth=1
                                        ; =>  This Inner Loop Header: Depth=2
	v_mul_hi_u32 v2, s38, v6
	v_add_u32_e32 v2, v6, v2
	v_add_u32_e32 v6, s37, v6
	v_lshrrev_b32_e32 v2, s39, v2
	v_cmp_ge_i32_e32 vcc, v6, v7
	v_lshlrev_b64 v[14:15], 2, v[2:3]
	v_mov_b32_e32 v5, s25
	s_or_b64 s[4:5], vcc, s[4:5]
	v_add_co_u32_e32 v14, vcc, s24, v14
	v_addc_co_u32_e32 v15, vcc, v5, v15, vcc
	s_waitcnt lgkmcnt(1)
	global_store_dword v[14:15], v1, off
	s_andn2_b64 exec, exec, s[4:5]
	s_cbranch_execnz .LBB4_70
	s_branch .LBB4_66
.LBB4_71:
	s_or_b64 exec, exec, s[6:7]
	s_waitcnt lgkmcnt(1)
	v_mov_b32_e32 v1, s42
	s_waitcnt lgkmcnt(0)
	s_barrier
	ds_read_b32 v1, v1
	s_add_i32 s4, s42, s41
	v_mov_b32_e32 v2, s4
	s_andn2_b64 vcc, exec, s[18:19]
	s_waitcnt lgkmcnt(0)
	ds_write_b32 v2, v1 offset:4
	s_cbranch_vccnz .LBB4_85
; %bb.72:
	s_add_u32 s27, s20, -4
	s_addc_u32 s30, s21, -1
	s_add_u32 s31, s14, -4
	s_addc_u32 s35, s15, -1
	;; [unrolled: 2-line block ×3, first 2 shown]
	s_lshl_b32 s6, s28, 3
	v_and_b32_e32 v1, 8, v12
	v_add3_u32 v2, v10, s6, v11
	s_lshl_b32 s41, s28, 5
	v_cmp_gt_i32_e32 vcc, s29, v9
	s_mov_b32 s26, 0
	v_cmp_eq_u32_e64 s[4:5], 0, v1
	v_lshl_or_b32 v1, v0, 2, 28
	v_mul_lo_u32 v4, s40, v9
	s_lshl_b32 s39, s40, 3
	v_add3_u32 v5, v2, 0, 8
	s_add_i32 s41, s41, 32
	v_mov_b32_e32 v3, 0
	s_mov_b32 s42, 0x4020100
	s_branch .LBB4_74
.LBB4_73:                               ;   in Loop: Header=BB4_74 Depth=1
	s_or_b64 exec, exec, s[10:11]
	s_add_i32 s26, s26, s29
	s_cmp_ge_i32 s26, s33
	v_add_u32_e32 v4, s34, v4
	s_waitcnt lgkmcnt(0)
	s_barrier
	s_cbranch_scc1 .LBB4_85
.LBB4_74:                               ; =>This Loop Header: Depth=1
                                        ;     Child Loop BB4_79 Depth 2
                                        ;       Child Loop BB4_83 Depth 3
	s_and_saveexec_b64 s[10:11], s[0:1]
	s_cbranch_execz .LBB4_73
; %bb.75:                               ;   in Loop: Header=BB4_74 Depth=1
	s_mov_b64 s[12:13], 0
	v_mov_b32_e32 v6, v5
	v_mov_b32_e32 v2, v8
	s_branch .LBB4_79
.LBB4_76:                               ;   in Loop: Header=BB4_79 Depth=2
	s_or_b64 exec, exec, s[24:25]
.LBB4_77:                               ;   in Loop: Header=BB4_79 Depth=2
	s_or_b64 exec, exec, s[18:19]
	s_waitcnt lgkmcnt(0)
	ds_write_b32 v7, v10
.LBB4_78:                               ;   in Loop: Header=BB4_79 Depth=2
	s_or_b64 exec, exec, s[14:15]
	v_add_u32_e32 v2, 32, v2
	v_cmp_le_i32_e64 s[6:7], s28, v2
	s_or_b64 s[12:13], s[6:7], s[12:13]
	v_add_u32_e32 v6, 0x80, v6
	s_andn2_b64 exec, exec, s[12:13]
	s_cbranch_execz .LBB4_73
.LBB4_79:                               ;   Parent Loop BB4_74 Depth=1
                                        ; =>  This Loop Header: Depth=2
                                        ;       Child Loop BB4_83 Depth 3
	v_lshlrev_b64 v[10:11], 2, v[2:3]
	v_mov_b32_e32 v7, s17
	v_add_co_u32_e64 v10, s[6:7], s16, v10
	v_addc_co_u32_e64 v11, s[6:7], v7, v11, s[6:7]
	global_load_dword v7, v[10:11], off
	s_waitcnt vmcnt(0)
	v_cmp_ne_u32_e64 s[6:7], 0, v7
	s_and_saveexec_b64 s[14:15], s[6:7]
	s_cbranch_execz .LBB4_78
; %bb.80:                               ;   in Loop: Header=BB4_79 Depth=2
	v_lshl_add_u32 v7, v2, 2, 0
	ds_read_b32 v10, v7
	s_and_saveexec_b64 s[18:19], vcc
	s_cbranch_execz .LBB4_77
; %bb.81:                               ;   in Loop: Header=BB4_79 Depth=2
	s_mov_b64 s[24:25], 0
	v_mov_b32_e32 v11, v6
	v_mov_b32_e32 v12, v4
	;; [unrolled: 1-line block ×3, first 2 shown]
	s_branch .LBB4_83
.LBB4_82:                               ;   in Loop: Header=BB4_83 Depth=3
	s_or_b64 exec, exec, s[8:9]
	ds_bpermute_b32 v14, v1, v14
	v_add_u32_e32 v13, 8, v13
	v_cmp_le_i32_e64 s[6:7], s29, v13
	v_add_u32_e32 v12, s39, v12
	s_or_b64 s[24:25], s[6:7], s[24:25]
	s_waitcnt lgkmcnt(0)
	v_add_u32_e32 v10, v14, v10
	v_add_u32_e32 v11, s41, v11
	s_andn2_b64 exec, exec, s[24:25]
	s_cbranch_execz .LBB4_76
.LBB4_83:                               ;   Parent Loop BB4_74 Depth=1
                                        ;     Parent Loop BB4_79 Depth=2
                                        ; =>    This Inner Loop Header: Depth=3
	ds_read_b32 v15, v11
	s_waitcnt lgkmcnt(0)
	v_cmp_ne_u32_e64 s[6:7], 0, v15
	v_cndmask_b32_e64 v14, 0, 1, s[6:7]
	s_nop 1
	v_mov_b32_dpp v14, v14 row_shr:1 row_mask:0xf bank_mask:0xf bound_ctrl:1
	v_addc_co_u32_e64 v16, s[8:9], 0, v14, s[6:7]
	s_nop 1
	v_mov_b32_dpp v16, v16 row_shr:2 row_mask:0xf bank_mask:0xf bound_ctrl:1
	v_addc_co_u32_e64 v14, s[8:9], v16, v14, s[6:7]
	s_nop 1
	v_add_u32_dpp v14, v14, v14 row_shr:4 row_mask:0xf bank_mask:0xf bound_ctrl:1
	s_nop 1
	v_add_u32_dpp v14, v14, v14 row_shr:8 row_mask:0xf bank_mask:0xf bound_ctrl:1
	s_nop 1
	v_mov_b32_dpp v16, v14 row_newbcast:7 row_mask:0xf bank_mask:0xf bound_ctrl:1
	v_cndmask_b32_e64 v16, v16, 0, s[4:5]
	v_sub_u32_e32 v14, v14, v16
	s_and_saveexec_b64 s[8:9], s[6:7]
	s_cbranch_execz .LBB4_82
; %bb.84:                               ;   in Loop: Header=BB4_83 Depth=3
	v_add_u32_e32 v16, v12, v15
	v_ashrrev_i32_e32 v17, 31, v16
	v_lshlrev_b64 v[16:17], 2, v[16:17]
	v_mov_b32_e32 v18, s35
	v_add_co_u32_e64 v16, s[6:7], s31, v16
	v_addc_co_u32_e64 v17, s[6:7], v18, v17, s[6:7]
	global_load_dword v20, v[16:17], off
	v_add_u32_e32 v16, s26, v13
	v_perm_b32 v15, v15, v16, s42
	v_add_u32_e32 v16, v14, v10
	v_ashrrev_i32_e32 v17, 31, v16
	v_lshlrev_b64 v[16:17], 2, v[16:17]
	v_mov_b32_e32 v19, s30
	v_add_co_u32_e64 v18, s[6:7], s27, v16
	v_add_u32_e32 v15, 0xff000000, v15
	v_addc_co_u32_e64 v19, s[6:7], v19, v17, s[6:7]
	global_store_dword v[18:19], v15, off
	v_mov_b32_e32 v15, s38
	v_add_co_u32_e64 v16, s[6:7], s37, v16
	v_addc_co_u32_e64 v17, s[6:7], v15, v17, s[6:7]
	s_waitcnt vmcnt(1)
	global_store_dword v[16:17], v20, off
	s_branch .LBB4_82
.LBB4_85:
	s_and_saveexec_b64 s[0:1], s[2:3]
	s_cbranch_execz .LBB4_96
; %bb.86:
	s_and_b32 s0, s33, 0xffffff
	s_lshl_b32 s1, s40, 24
	s_or_b32 s4, s0, s1
	s_mov_b32 s5, s4
	s_add_i32 s36, s36, 4
	s_mov_b64 s[2:3], 0
	s_mov_b32 s8, 0
	v_mov_b32_e32 v1, 0
	s_branch .LBB4_88
.LBB4_87:                               ;   in Loop: Header=BB4_88 Depth=1
	s_or_b64 exec, exec, s[12:13]
	v_add_u32_e32 v0, 0x100, v0
	v_cmp_le_i32_e32 vcc, s28, v0
	s_or_b64 s[2:3], vcc, s[2:3]
	s_andn2_b64 exec, exec, s[2:3]
	s_cbranch_execz .LBB4_96
.LBB4_88:                               ; =>This Loop Header: Depth=1
                                        ;     Child Loop BB4_91 Depth 2
                                        ;     Child Loop BB4_95 Depth 2
	v_lshlrev_b32_e32 v2, 2, v0
	v_add_u32_e32 v3, 0, v2
	v_add_u32_e32 v4, s36, v2
	ds_read_b32 v2, v3
	ds_read_b32 v8, v4
	s_waitcnt lgkmcnt(0)
	v_cmp_gt_i32_e32 vcc, v8, v2
	s_and_saveexec_b64 s[12:13], vcc
	s_cbranch_execz .LBB4_87
; %bb.89:                               ;   in Loop: Header=BB4_88 Depth=1
	v_sub_u32_e32 v3, v8, v2
	v_cmp_lt_u32_e32 vcc, 15, v3
	s_mov_b64 s[6:7], -1
	s_and_saveexec_b64 s[0:1], vcc
	s_cbranch_execz .LBB4_93
; %bb.90:                               ;   in Loop: Header=BB4_88 Depth=1
	v_and_b32_e32 v6, -16, v3
	s_mov_b64 s[14:15], 0
	v_mov_b32_e32 v4, v2
	v_mov_b32_e32 v7, v6
.LBB4_91:                               ;   Parent Loop BB4_88 Depth=1
                                        ; =>  This Inner Loop Header: Depth=2
	v_ashrrev_i32_e32 v5, 31, v4
	v_lshlrev_b64 v[14:15], 2, v[4:5]
	v_mov_b32_e32 v5, s21
	v_add_co_u32_e32 v16, vcc, s20, v14
	v_addc_co_u32_e32 v17, vcc, v5, v15, vcc
	s_mov_b32 s6, s4
	s_mov_b32 s7, s5
	v_pk_mov_b32 v[12:13], s[6:7], s[6:7] op_sel:[0,1]
	v_mov_b32_e32 v5, s23
	v_add_co_u32_e32 v14, vcc, s22, v14
	v_pk_mov_b32 v[10:11], s[4:5], s[4:5] op_sel:[0,1]
	v_addc_co_u32_e32 v15, vcc, v5, v15, vcc
	s_mov_b32 s10, s8
	s_mov_b32 s11, s8
	v_add_u32_e32 v7, -16, v7
	global_store_dwordx4 v[16:17], v[10:13], off
	global_store_dwordx4 v[16:17], v[10:13], off offset:16
	global_store_dwordx4 v[16:17], v[10:13], off offset:32
	;; [unrolled: 1-line block ×3, first 2 shown]
	s_mov_b32 s9, s8
	v_pk_mov_b32 v[12:13], s[10:11], s[10:11] op_sel:[0,1]
	v_cmp_eq_u32_e32 vcc, 0, v7
	v_pk_mov_b32 v[10:11], s[8:9], s[8:9] op_sel:[0,1]
	s_or_b64 s[14:15], vcc, s[14:15]
	v_add_u32_e32 v4, 16, v4
	global_store_dwordx4 v[14:15], v[10:13], off
	global_store_dwordx4 v[14:15], v[10:13], off offset:16
	global_store_dwordx4 v[14:15], v[10:13], off offset:32
	;; [unrolled: 1-line block ×3, first 2 shown]
	s_andn2_b64 exec, exec, s[14:15]
	s_cbranch_execnz .LBB4_91
; %bb.92:                               ;   in Loop: Header=BB4_88 Depth=1
	s_or_b64 exec, exec, s[14:15]
	v_cmp_ne_u32_e32 vcc, v3, v6
	v_add_u32_e32 v2, v2, v6
	s_orn2_b64 s[6:7], vcc, exec
.LBB4_93:                               ;   in Loop: Header=BB4_88 Depth=1
	s_or_b64 exec, exec, s[0:1]
	s_and_b64 exec, exec, s[6:7]
	s_cbranch_execz .LBB4_87
; %bb.94:                               ;   in Loop: Header=BB4_88 Depth=1
	v_ashrrev_i32_e32 v3, 31, v2
	v_lshlrev_b64 v[6:7], 2, v[2:3]
	v_mov_b32_e32 v3, s21
	v_add_co_u32_e32 v4, vcc, s20, v6
	v_addc_co_u32_e32 v5, vcc, v3, v7, vcc
	v_mov_b32_e32 v3, s23
	v_add_co_u32_e32 v6, vcc, s22, v6
	v_addc_co_u32_e32 v7, vcc, v3, v7, vcc
	s_mov_b64 s[6:7], 0
.LBB4_95:                               ;   Parent Loop BB4_88 Depth=1
                                        ; =>  This Inner Loop Header: Depth=2
	global_store_dword v[6:7], v1, off
	v_add_co_u32_e32 v6, vcc, 4, v6
	v_mov_b32_e32 v3, s4
	v_add_u32_e32 v2, 1, v2
	v_addc_co_u32_e32 v7, vcc, 0, v7, vcc
	global_store_dword v[4:5], v3, off
	v_cmp_ge_i32_e32 vcc, v2, v8
	v_add_co_u32_e64 v4, s[0:1], 4, v4
	s_or_b64 s[6:7], vcc, s[6:7]
	v_addc_co_u32_e64 v5, vcc, 0, v5, s[0:1]
	s_andn2_b64 exec, exec, s[6:7]
	s_cbranch_execnz .LBB4_95
	s_branch .LBB4_87
.LBB4_96:
	s_endpgm
	.section	.rodata,"a",@progbits
	.p2align	6, 0x0
	.amdhsa_kernel _ZN5aiter22opus_moe_sorting_entryINS_16MoeSortingKernelINS_19MoeSortingProblemExIifLi1ELb1ELb1ELb1ELb1ELi0EEEEENS4_5KargsEEEvT0_
		.amdhsa_group_segment_fixed_size 0
		.amdhsa_private_segment_fixed_size 0
		.amdhsa_kernarg_size 400
		.amdhsa_user_sgpr_count 6
		.amdhsa_user_sgpr_private_segment_buffer 1
		.amdhsa_user_sgpr_dispatch_ptr 0
		.amdhsa_user_sgpr_queue_ptr 0
		.amdhsa_user_sgpr_kernarg_segment_ptr 1
		.amdhsa_user_sgpr_dispatch_id 0
		.amdhsa_user_sgpr_flat_scratch_init 0
		.amdhsa_user_sgpr_kernarg_preload_length 0
		.amdhsa_user_sgpr_kernarg_preload_offset 0
		.amdhsa_user_sgpr_private_segment_size 0
		.amdhsa_uses_dynamic_stack 0
		.amdhsa_system_sgpr_private_segment_wavefront_offset 0
		.amdhsa_system_sgpr_workgroup_id_x 1
		.amdhsa_system_sgpr_workgroup_id_y 0
		.amdhsa_system_sgpr_workgroup_id_z 0
		.amdhsa_system_sgpr_workgroup_info 0
		.amdhsa_system_vgpr_workitem_id 0
		.amdhsa_next_free_vgpr 21
		.amdhsa_next_free_sgpr 46
		.amdhsa_accum_offset 24
		.amdhsa_reserve_vcc 1
		.amdhsa_reserve_flat_scratch 0
		.amdhsa_float_round_mode_32 0
		.amdhsa_float_round_mode_16_64 0
		.amdhsa_float_denorm_mode_32 3
		.amdhsa_float_denorm_mode_16_64 3
		.amdhsa_dx10_clamp 1
		.amdhsa_ieee_mode 1
		.amdhsa_fp16_overflow 0
		.amdhsa_tg_split 0
		.amdhsa_exception_fp_ieee_invalid_op 0
		.amdhsa_exception_fp_denorm_src 0
		.amdhsa_exception_fp_ieee_div_zero 0
		.amdhsa_exception_fp_ieee_overflow 0
		.amdhsa_exception_fp_ieee_underflow 0
		.amdhsa_exception_fp_ieee_inexact 0
		.amdhsa_exception_int_div_zero 0
	.end_amdhsa_kernel
	.section	.text._ZN5aiter22opus_moe_sorting_entryINS_16MoeSortingKernelINS_19MoeSortingProblemExIifLi1ELb1ELb1ELb1ELb1ELi0EEEEENS4_5KargsEEEvT0_,"axG",@progbits,_ZN5aiter22opus_moe_sorting_entryINS_16MoeSortingKernelINS_19MoeSortingProblemExIifLi1ELb1ELb1ELb1ELb1ELi0EEEEENS4_5KargsEEEvT0_,comdat
.Lfunc_end4:
	.size	_ZN5aiter22opus_moe_sorting_entryINS_16MoeSortingKernelINS_19MoeSortingProblemExIifLi1ELb1ELb1ELb1ELb1ELi0EEEEENS4_5KargsEEEvT0_, .Lfunc_end4-_ZN5aiter22opus_moe_sorting_entryINS_16MoeSortingKernelINS_19MoeSortingProblemExIifLi1ELb1ELb1ELb1ELb1ELi0EEEEENS4_5KargsEEEvT0_
                                        ; -- End function
	.section	.AMDGPU.csdata,"",@progbits
; Kernel info:
; codeLenInByte = 4056
; NumSgprs: 50
; NumVgprs: 21
; NumAgprs: 0
; TotalNumVgprs: 21
; ScratchSize: 0
; MemoryBound: 0
; FloatMode: 240
; IeeeMode: 1
; LDSByteSize: 0 bytes/workgroup (compile time only)
; SGPRBlocks: 6
; VGPRBlocks: 2
; NumSGPRsForWavesPerEU: 50
; NumVGPRsForWavesPerEU: 21
; AccumOffset: 24
; Occupancy: 8
; WaveLimiterHint : 1
; COMPUTE_PGM_RSRC2:SCRATCH_EN: 0
; COMPUTE_PGM_RSRC2:USER_SGPR: 6
; COMPUTE_PGM_RSRC2:TRAP_HANDLER: 0
; COMPUTE_PGM_RSRC2:TGID_X_EN: 1
; COMPUTE_PGM_RSRC2:TGID_Y_EN: 0
; COMPUTE_PGM_RSRC2:TGID_Z_EN: 0
; COMPUTE_PGM_RSRC2:TIDIG_COMP_CNT: 0
; COMPUTE_PGM_RSRC3_GFX90A:ACCUM_OFFSET: 5
; COMPUTE_PGM_RSRC3_GFX90A:TG_SPLIT: 0
	.section	.text._ZN5aiter22opus_moe_sorting_entryINS_16MoeSortingKernelINS_19MoeSortingProblemExIifLi8ELb1ELb1ELb0ELb1ELi0EEEEENS4_5KargsEEEvT0_,"axG",@progbits,_ZN5aiter22opus_moe_sorting_entryINS_16MoeSortingKernelINS_19MoeSortingProblemExIifLi8ELb1ELb1ELb0ELb1ELi0EEEEENS4_5KargsEEEvT0_,comdat
	.protected	_ZN5aiter22opus_moe_sorting_entryINS_16MoeSortingKernelINS_19MoeSortingProblemExIifLi8ELb1ELb1ELb0ELb1ELi0EEEEENS4_5KargsEEEvT0_ ; -- Begin function _ZN5aiter22opus_moe_sorting_entryINS_16MoeSortingKernelINS_19MoeSortingProblemExIifLi8ELb1ELb1ELb0ELb1ELi0EEEEENS4_5KargsEEEvT0_
	.globl	_ZN5aiter22opus_moe_sorting_entryINS_16MoeSortingKernelINS_19MoeSortingProblemExIifLi8ELb1ELb1ELb0ELb1ELi0EEEEENS4_5KargsEEEvT0_
	.p2align	8
	.type	_ZN5aiter22opus_moe_sorting_entryINS_16MoeSortingKernelINS_19MoeSortingProblemExIifLi8ELb1ELb1ELb0ELb1ELi0EEEEENS4_5KargsEEEvT0_,@function
_ZN5aiter22opus_moe_sorting_entryINS_16MoeSortingKernelINS_19MoeSortingProblemExIifLi8ELb1ELb1ELb0ELb1ELi0EEEEENS4_5KargsEEEvT0_: ; @_ZN5aiter22opus_moe_sorting_entryINS_16MoeSortingKernelINS_19MoeSortingProblemExIifLi8ELb1ELb1ELb0ELb1ELi0EEEEENS4_5KargsEEEvT0_
; %bb.0:
	s_load_dwordx8 s[24:31], s[4:5], 0x20
	s_load_dwordx8 s[36:43], s[4:5], 0x40
	s_cmp_eq_u32 s6, 0
	s_cbranch_scc1 .LBB5_7
; %bb.1:
	s_waitcnt lgkmcnt(0)
	s_cmp_eq_u64 s[36:37], 0
	s_mov_b64 s[2:3], 0
	s_cbranch_scc1 .LBB5_6
; %bb.2:
	s_mul_i32 s1, s42, s40
	s_ashr_i32 s7, s43, 31
	s_mul_hi_i32 s0, s42, s40
	s_mul_i32 s7, s1, s7
	s_mul_hi_u32 s8, s1, s43
	s_add_i32 s7, s8, s7
	s_mul_i32 s0, s0, s43
	s_add_i32 s8, s7, s0
	s_ashr_i32 s0, s8, 31
	s_mul_i32 s1, s1, s43
	s_lshr_b32 s0, s0, 28
	s_add_u32 s0, s1, s0
	s_addc_u32 s1, s8, 0
	v_lshl_add_u32 v1, s6, 8, v0
	s_ashr_i64 s[8:9], s[0:1], 4
	v_add_u32_e32 v2, 0xffffff00, v1
	v_mov_b32_e32 v3, 0
	s_mov_b32 s7, 0
	v_cmp_gt_i64_e32 vcc, s[8:9], v[2:3]
	s_and_saveexec_b64 s[10:11], vcc
	s_cbranch_execz .LBB5_5
; %bb.3:
	s_load_dword s0, s[4:5], 0x90
	v_lshlrev_b64 v[4:5], 4, v[2:3]
	v_mov_b32_e32 v1, s37
	v_add_co_u32_e32 v8, vcc, s36, v4
	s_waitcnt lgkmcnt(0)
	s_lshl_b32 s0, s0, 8
	s_add_i32 s6, s0, 0xffffff00
	s_lshl_b64 s[12:13], s[6:7], 4
	v_pk_mov_b32 v[6:7], v[2:3], v[2:3] op_sel:[0,1]
	v_addc_co_u32_e32 v9, vcc, v1, v5, vcc
	s_mov_b64 s[14:15], 0
	v_mov_b32_e32 v2, v3
	v_mov_b32_e32 v4, v3
	;; [unrolled: 1-line block ×5, first 2 shown]
.LBB5_4:                                ; =>This Inner Loop Header: Depth=1
	v_add_co_u32_e32 v6, vcc, s6, v6
	v_addc_co_u32_e32 v7, vcc, v7, v1, vcc
	global_store_dwordx4 v[8:9], v[2:5], off
	v_add_co_u32_e32 v8, vcc, s12, v8
	v_cmp_le_i64_e64 s[0:1], s[8:9], v[6:7]
	s_or_b64 s[14:15], s[0:1], s[14:15]
	v_addc_co_u32_e32 v9, vcc, v9, v10, vcc
	s_andn2_b64 exec, exec, s[14:15]
	s_cbranch_execnz .LBB5_4
.LBB5_5:
	s_or_b64 exec, exec, s[10:11]
.LBB5_6:
	s_andn2_b64 vcc, exec, s[2:3]
	s_cbranch_vccz .LBB5_8
	s_branch .LBB5_96
.LBB5_7:
.LBB5_8:
	s_load_dwordx8 s[44:51], s[4:5], 0x64
	s_load_dwordx4 s[52:55], s[4:5], 0x0
	s_load_dwordx2 s[22:23], s[4:5], 0x10
	s_load_dwordx2 s[0:1], s[4:5], 0x84
	v_lshrrev_b32_e32 v1, 6, v0
	s_waitcnt lgkmcnt(0)
	s_add_i32 s33, s44, -2
	s_mul_i32 s10, s33, s41
	v_readfirstlane_b32 s56, v1
	s_add_i32 s12, s41, 1
	v_cmp_gt_i32_e32 vcc, s10, v0
	s_and_saveexec_b64 s[2:3], vcc
	s_cbranch_execz .LBB5_18
; %bb.9:
	v_xad_u32 v2, v0, -1, s10
	s_movk_i32 s6, 0xff
	s_mov_b32 s5, 0
	s_mov_b32 s4, s0
	s_sub_i32 s0, s12, s51
	v_cmp_lt_u32_e32 vcc, s6, v2
	s_mov_b64 s[8:9], 0
                                        ; implicit-def: $vgpr1
                                        ; implicit-def: $sgpr11
	s_and_saveexec_b64 s[6:7], vcc
	s_xor_b64 s[6:7], exec, s[6:7]
	s_cbranch_execnz .LBB5_12
; %bb.10:
	s_or_saveexec_b64 s[6:7], s[6:7]
	v_mov_b32_e32 v2, s11
	s_xor_b64 exec, exec, s[6:7]
	s_cbranch_execnz .LBB5_15
.LBB5_11:
	s_or_b64 exec, exec, s[6:7]
	s_and_b64 exec, exec, s[8:9]
	s_cbranch_execnz .LBB5_16
	s_branch .LBB5_18
.LBB5_12:
	v_lshrrev_b32_e32 v1, 8, v2
	v_add_u32_e32 v4, 1, v1
	s_lshl_b32 s11, s41, 3
	v_and_b32_e32 v5, 0x1fffffe, v4
	v_add_u32_e32 v1, 0x100, v0
	s_add_i32 s8, s11, 0
	s_mov_b32 s13, s4
	s_mov_b32 s14, s1
	;; [unrolled: 1-line block ×3, first 2 shown]
	v_lshl_add_u32 v6, v0, 2, s8
	s_mov_b64 s[8:9], 0
	v_mov_b32_e32 v7, 0
	v_mov_b32_e32 v8, v5
	v_pk_mov_b32 v[2:3], v[0:1], v[0:1] op_sel:[0,1]
.LBB5_13:                               ; =>This Inner Loop Header: Depth=1
	v_mul_hi_u32 v1, s4, v2
	v_mul_hi_u32 v9, s13, v3
	v_add_u32_e32 v9, v3, v9
	v_add_u32_e32 v1, v2, v1
	v_add_u32_e32 v8, -2, v8
	v_lshrrev_b32_e32 v1, s14, v1
	v_lshrrev_b32_e32 v9, s1, v9
	v_cmp_eq_u32_e32 vcc, 0, v8
	v_mul_lo_u32 v9, v9, s15
	v_mul_lo_u32 v1, v1, s0
	v_add_u32_e32 v3, 0x200, v3
	v_add_u32_e32 v2, 0x200, v2
	s_or_b64 s[8:9], vcc, s[8:9]
	v_lshl_add_u32 v1, v1, 2, v6
	v_lshl_add_u32 v9, v9, 2, v6
	v_add_u32_e32 v6, 0x800, v6
	ds_write_b32 v1, v7 offset:8
	ds_write_b32 v9, v7 offset:1032
	s_andn2_b64 exec, exec, s[8:9]
	s_cbranch_execnz .LBB5_13
; %bb.14:
	s_or_b64 exec, exec, s[8:9]
	v_cmp_ne_u32_e32 vcc, v4, v5
	v_lshl_add_u32 v1, v5, 8, v0
	s_and_b64 s[8:9], vcc, exec
	s_or_saveexec_b64 s[6:7], s[6:7]
	v_mov_b32_e32 v2, s11
	s_xor_b64 exec, exec, s[6:7]
	s_cbranch_execz .LBB5_11
.LBB5_15:
	s_lshl_b32 s11, s41, 3
	v_mov_b32_e32 v2, s11
	s_or_b64 s[8:9], s[8:9], exec
	v_mov_b32_e32 v1, v0
	s_or_b64 exec, exec, s[6:7]
	s_and_b64 exec, exec, s[8:9]
	s_cbranch_execz .LBB5_18
.LBB5_16:
	v_lshl_add_u32 v2, v1, 2, v2
	v_mad_u64_u32 v[4:5], s[6:7], v1, s4, 0
	s_lshl_b64 s[4:5], s[4:5], 8
	s_lshl_b32 s0, s0, 2
	v_add3_u32 v2, v2, 0, 8
	s_mov_b64 s[6:7], 0
	v_mov_b32_e32 v3, 0
	v_mov_b32_e32 v6, s5
.LBB5_17:                               ; =>This Inner Loop Header: Depth=1
	v_add_co_u32_e32 v4, vcc, s4, v4
	v_add_u32_e32 v7, v1, v5
	v_add_u32_e32 v1, 0x100, v1
	v_addc_co_u32_e32 v5, vcc, v5, v6, vcc
	v_lshrrev_b32_e32 v7, s1, v7
	v_cmp_le_i32_e32 vcc, s10, v1
	v_mad_u64_u32 v[8:9], s[8:9], s0, v7, v[2:3]
	v_add_u32_e32 v2, 0x400, v2
	s_or_b64 s[6:7], vcc, s[6:7]
	ds_write_b32 v8, v3
	s_andn2_b64 exec, exec, s[6:7]
	s_cbranch_execnz .LBB5_17
.LBB5_18:
	s_or_b64 exec, exec, s[2:3]
	s_cmp_gt_i32 s40, 0
	s_mov_b32 s3, 0
	s_cselect_b64 s[34:35], -1, 0
	s_cmp_lt_i32 s40, 1
	s_mul_i32 s51, s48, s33
	s_waitcnt lgkmcnt(0)
	s_barrier
	s_cbranch_scc1 .LBB5_26
; %bb.19:
	s_lshl_b32 s0, s12, 3
	s_mov_b32 s2, s49
	s_add_i32 s13, s0, 0
	v_cmp_gt_i32_e32 vcc, s51, v0
	s_sub_i32 s14, 0, s48
	v_mad_u64_u32 v[2:3], s[0:1], v0, s49, 0
	s_lshl_b64 s[4:5], s[2:3], 8
	v_mov_b32_e32 v5, 0
	s_mov_b32 s2, 0
	s_branch .LBB5_21
.LBB5_20:                               ;   in Loop: Header=BB5_21 Depth=1
	s_or_b64 exec, exec, s[6:7]
	s_add_i32 s2, s2, s33
	s_add_i32 s3, s3, s51
	s_cmp_ge_i32 s2, s40
	s_barrier
	s_cbranch_scc1 .LBB5_26
.LBB5_21:                               ; =>This Loop Header: Depth=1
                                        ;     Child Loop BB5_24 Depth 2
	s_and_saveexec_b64 s[6:7], vcc
	s_cbranch_execz .LBB5_20
; %bb.22:                               ;   in Loop: Header=BB5_21 Depth=1
	s_mov_b64 s[8:9], 0
	v_pk_mov_b32 v[6:7], v[2:3], v[2:3] op_sel:[0,1]
	v_mov_b32_e32 v1, v0
	s_branch .LBB5_24
.LBB5_23:                               ;   in Loop: Header=BB5_24 Depth=2
	s_or_b64 exec, exec, s[10:11]
	v_add_u32_e32 v1, 0x100, v1
	v_cmp_le_i32_e64 s[0:1], s51, v1
	v_mov_b32_e32 v4, s5
	s_or_b64 s[8:9], s[0:1], s[8:9]
	v_add_co_u32_e64 v6, s[0:1], s4, v6
	v_addc_co_u32_e64 v7, s[0:1], v7, v4, s[0:1]
	s_waitcnt lgkmcnt(0)
	s_andn2_b64 exec, exec, s[8:9]
	s_cbranch_execz .LBB5_20
.LBB5_24:                               ;   Parent Loop BB5_21 Depth=1
                                        ; =>  This Inner Loop Header: Depth=2
	v_add_u32_e32 v4, v1, v7
	v_lshrrev_b32_e32 v8, s50, v4
	v_add_u32_e32 v4, s2, v8
	v_cmp_gt_i32_e64 s[0:1], s40, v4
	s_and_saveexec_b64 s[10:11], s[0:1]
	s_cbranch_execz .LBB5_23
; %bb.25:                               ;   in Loop: Header=BB5_24 Depth=2
	v_add_u32_e32 v4, s3, v1
	v_lshlrev_b64 v[10:11], 2, v[4:5]
	v_mov_b32_e32 v4, s53
	v_add_co_u32_e64 v10, s[0:1], s52, v10
	v_addc_co_u32_e64 v11, s[0:1], v4, v11, s[0:1]
	global_load_dword v4, v[10:11], off
	v_mul_lo_u32 v9, s14, v8
	v_mul_lo_u32 v8, v8, s12
	v_lshlrev_b32_e32 v8, 2, v8
	v_add3_u32 v9, v1, v9, 1
	s_waitcnt vmcnt(0)
	v_lshlrev_b32_e32 v4, 2, v4
	v_add3_u32 v4, s13, v4, v8
	ds_write_b32 v4, v9
	s_branch .LBB5_23
.LBB5_26:
	v_cmp_eq_u32_e32 vcc, 0, v0
	s_and_saveexec_b64 s[0:1], vcc
	s_cbranch_execz .LBB5_28
; %bb.27:
	v_mov_b32_e32 v1, 0
	ds_write_b32 v1, v1
.LBB5_28:
	s_or_b64 exec, exec, s[0:1]
	v_mbcnt_lo_u32_b32 v1, -1, 0
	v_and_b32_e32 v9, 7, v0
	v_mbcnt_hi_u32_b32 v12, -1, v1
	v_lshrrev_b32_e32 v8, 3, v0
	v_mul_lo_u32 v1, s12, v9
	v_cmp_gt_i32_e64 s[0:1], s41, v8
	v_lshlrev_b32_e32 v10, 2, v1
	v_lshlrev_b32_e32 v11, 2, v8
	s_and_saveexec_b64 s[36:37], s[0:1]
	s_cbranch_execz .LBB5_36
; %bb.29:
	s_cmp_gt_i32 s44, 2
	s_cselect_b64 s[4:5], -1, 0
	s_lshl_b32 s6, s41, 3
	v_lshlrev_b32_e32 v3, 2, v12
	v_add3_u32 v4, v10, s6, v11
	s_lshl_b32 s44, s41, 8
	s_lshl_b32 s49, s41, 5
	v_cndmask_b32_e64 v5, 0, 1, s[4:5]
	v_xor_b32_e32 v1, 4, v3
	v_xor_b32_e32 v2, 8, v3
	v_xor_b32_e32 v3, 16, v3
	v_cmp_eq_u32_e64 s[2:3], 0, v9
	v_add3_u32 v4, v4, 0, 8
	s_addk_i32 s44, 0x100
	s_add_i32 s50, s49, 32
	s_mov_b64 s[42:43], 0
	v_cmp_ne_u32_e64 s[4:5], 1, v5
	v_mov_b32_e32 v5, v8
	s_branch .LBB5_31
.LBB5_30:                               ;   in Loop: Header=BB5_31 Depth=1
	s_or_b64 exec, exec, s[6:7]
	v_add_u32_e32 v5, 32, v5
	v_cmp_le_i32_e32 vcc, s41, v5
	s_or_b64 s[42:43], vcc, s[42:43]
	v_add_u32_e32 v4, 0x80, v4
	s_andn2_b64 exec, exec, s[42:43]
	s_cbranch_execz .LBB5_36
.LBB5_31:                               ; =>This Loop Header: Depth=1
                                        ;     Child Loop BB5_33 Depth 2
	s_and_b64 vcc, exec, s[4:5]
	v_mov_b32_e32 v6, 0
	s_cbranch_vccnz .LBB5_34
; %bb.32:                               ;   in Loop: Header=BB5_31 Depth=1
	s_mov_b32 s57, 0
	v_mov_b32_e32 v6, 0
	v_mov_b32_e32 v7, v4
.LBB5_33:                               ;   Parent Loop BB5_31 Depth=1
                                        ; =>  This Inner Loop Header: Depth=2
	ds_read_b32 v13, v7
	v_add_u32_e32 v14, s49, v7
	v_add_u32_e32 v15, s50, v14
	ds_read_b32 v14, v14 offset:32
	v_add_u32_e32 v16, s50, v15
	ds_read_b32 v15, v15 offset:32
	;; [unrolled: 2-line block ×3, first 2 shown]
	ds_read_b32 v18, v17 offset:32
	v_add_u32_e32 v17, s50, v17
	s_waitcnt lgkmcnt(4)
	v_cmp_ne_u32_e32 vcc, 0, v13
	v_cndmask_b32_e64 v13, 0, 1, vcc
	ds_read_b32 v19, v17 offset:32
	v_add_u32_e32 v17, s50, v17
	s_waitcnt lgkmcnt(4)
	v_cmp_ne_u32_e64 s[6:7], 0, v14
	ds_read_b32 v20, v17 offset:32
	v_add_u32_e32 v17, s50, v17
	ds_bpermute_b32 v13, v1, v13
	v_cndmask_b32_e64 v14, 0, 1, s[6:7]
	s_waitcnt lgkmcnt(5)
	v_cmp_ne_u32_e64 s[8:9], 0, v15
	ds_read_b32 v17, v17 offset:32
	v_cndmask_b32_e64 v15, 0, 1, s[8:9]
	ds_bpermute_b32 v14, v1, v14
	s_waitcnt lgkmcnt(6)
	v_cmp_ne_u32_e64 s[10:11], 0, v16
	v_cndmask_b32_e64 v16, 0, 1, s[10:11]
	ds_bpermute_b32 v15, v1, v15
	s_waitcnt lgkmcnt(6)
	v_cmp_ne_u32_e64 s[12:13], 0, v18
	;; [unrolled: 4-line block ×4, first 2 shown]
	s_waitcnt lgkmcnt(5)
	v_addc_co_u32_e64 v21, s[18:19], 0, v13, vcc
	v_cndmask_b32_e64 v20, 0, 1, s[16:17]
	ds_bpermute_b32 v19, v1, v19
	s_waitcnt lgkmcnt(5)
	v_cmp_ne_u32_e64 s[18:19], 0, v17
	v_cndmask_b32_e64 v17, 0, 1, s[18:19]
	ds_bpermute_b32 v21, v2, v21
	s_waitcnt lgkmcnt(5)
	v_addc_co_u32_e64 v22, s[20:21], 0, v14, s[6:7]
	ds_bpermute_b32 v20, v1, v20
	ds_bpermute_b32 v22, v2, v22
	s_waitcnt lgkmcnt(6)
	v_addc_co_u32_e64 v23, s[20:21], 0, v15, s[8:9]
	ds_bpermute_b32 v17, v1, v17
	;; [unrolled: 4-line block ×3, first 2 shown]
	s_waitcnt lgkmcnt(7)
	v_addc_co_u32_e64 v25, s[20:21], 0, v18, s[12:13]
	ds_bpermute_b32 v25, v2, v25
	s_waitcnt lgkmcnt(7)
	v_addc_co_u32_e64 v26, s[20:21], 0, v19, s[14:15]
	s_waitcnt lgkmcnt(6)
	v_addc_co_u32_e32 v13, vcc, v21, v13, vcc
	ds_bpermute_b32 v21, v2, v26
	s_waitcnt lgkmcnt(6)
	v_addc_co_u32_e64 v26, vcc, 0, v20, s[16:17]
	ds_bpermute_b32 v27, v3, v13
	s_waitcnt lgkmcnt(6)
	v_addc_co_u32_e64 v14, vcc, v22, v14, s[6:7]
	;; [unrolled: 3-line block ×4, first 2 shown]
	ds_bpermute_b32 v23, v2, v26
	ds_bpermute_b32 v26, v3, v15
	s_waitcnt lgkmcnt(7)
	v_addc_co_u32_e64 v16, vcc, v24, v16, s[10:11]
	ds_bpermute_b32 v24, v3, v16
	s_waitcnt lgkmcnt(7)
	v_addc_co_u32_e64 v18, vcc, v25, v18, s[12:13]
	;; [unrolled: 3-line block ×3, first 2 shown]
	s_waitcnt lgkmcnt(6)
	v_add3_u32 v6, v13, v6, v27
	ds_bpermute_b32 v13, v3, v19
	s_waitcnt lgkmcnt(6)
	v_addc_co_u32_e64 v20, vcc, v22, v20, s[16:17]
	s_waitcnt lgkmcnt(5)
	v_add3_u32 v6, v6, v14, v28
	ds_bpermute_b32 v14, v3, v20
	s_waitcnt lgkmcnt(5)
	v_addc_co_u32_e64 v17, vcc, v23, v17, s[18:19]
	s_waitcnt lgkmcnt(4)
	v_add3_u32 v6, v6, v15, v26
	ds_bpermute_b32 v15, v3, v17
	s_waitcnt lgkmcnt(4)
	v_add3_u32 v6, v6, v16, v24
	s_waitcnt lgkmcnt(3)
	v_add3_u32 v6, v6, v18, v25
	;; [unrolled: 2-line block ×3, first 2 shown]
	s_add_i32 s57, s57, 64
	s_waitcnt lgkmcnt(1)
	v_add3_u32 v6, v6, v20, v14
	v_add_u32_e32 v7, s44, v7
	s_cmp_lt_i32 s57, s33
	s_waitcnt lgkmcnt(0)
	v_add3_u32 v6, v6, v17, v15
	s_cbranch_scc1 .LBB5_33
.LBB5_34:                               ;   in Loop: Header=BB5_31 Depth=1
	s_and_saveexec_b64 s[6:7], s[2:3]
	s_cbranch_execz .LBB5_30
; %bb.35:                               ;   in Loop: Header=BB5_31 Depth=1
	v_lshl_add_u32 v7, v5, 2, 0
	ds_write_b32 v7, v6 offset:4
	s_branch .LBB5_30
.LBB5_36:
	s_or_b64 exec, exec, s[36:37]
	s_lshl_b32 s12, s41, 2
	s_add_i32 s13, s12, 0
	v_mov_b32_e32 v1, 0
	v_mov_b32_e32 v2, s13
	v_cmp_gt_i32_e64 s[2:3], s41, v0
	ds_write_b32 v2, v1 offset:4
	s_and_saveexec_b64 s[4:5], s[2:3]
	s_cbranch_execz .LBB5_46
; %bb.37:
	v_xad_u32 v1, v0, -1, s41
	s_movk_i32 s6, 0xff
	v_cmp_lt_u32_e32 vcc, s6, v1
	s_mov_b64 s[8:9], 0
                                        ; implicit-def: $vgpr2
	s_and_saveexec_b64 s[6:7], vcc
	s_xor_b64 s[6:7], exec, s[6:7]
	s_cbranch_execnz .LBB5_40
; %bb.38:
	s_or_saveexec_b64 s[6:7], s[6:7]
	v_mov_b32_e32 v1, s12
	s_xor_b64 exec, exec, s[6:7]
	s_cbranch_execnz .LBB5_43
.LBB5_39:
	s_or_b64 exec, exec, s[6:7]
	s_and_b64 exec, exec, s[8:9]
	s_cbranch_execnz .LBB5_44
	s_branch .LBB5_46
.LBB5_40:
	v_lshrrev_b32_e32 v1, 8, v1
	v_add_u32_e32 v6, 1, v1
	v_and_b32_e32 v7, 0x1fffffe, v6
	v_add_u32_e32 v1, 0x100, v0
	v_lshlrev_b32_e32 v2, 2, v0
	v_add3_u32 v13, s13, v2, 8
	v_mov_b32_e32 v14, s23
	v_mov_b32_e32 v3, 0
	v_mov_b32_e32 v15, v7
	v_pk_mov_b32 v[4:5], v[0:1], v[0:1] op_sel:[0,1]
.LBB5_41:                               ; =>This Inner Loop Header: Depth=1
	v_mov_b32_e32 v2, v4
	v_lshlrev_b64 v[16:17], 2, v[2:3]
	v_mov_b32_e32 v2, v5
	v_add_co_u32_e32 v16, vcc, s22, v16
	v_addc_co_u32_e32 v17, vcc, v14, v17, vcc
	v_lshlrev_b64 v[18:19], 2, v[2:3]
	v_add_co_u32_e32 v18, vcc, s22, v18
	v_addc_co_u32_e32 v19, vcc, v14, v19, vcc
	global_load_dword v1, v[16:17], off
	global_load_dword v2, v[18:19], off
	v_add_u32_e32 v15, -2, v15
	v_cmp_eq_u32_e32 vcc, 0, v15
	v_add_u32_e32 v4, 0x200, v4
	v_add_u32_e32 v5, 0x200, v5
	s_or_b64 s[8:9], vcc, s[8:9]
	s_waitcnt vmcnt(0)
	ds_write2st64_b32 v13, v1, v2 offset1:4
	v_add_u32_e32 v13, 0x800, v13
	s_andn2_b64 exec, exec, s[8:9]
	s_cbranch_execnz .LBB5_41
; %bb.42:
	s_or_b64 exec, exec, s[8:9]
	v_cmp_ne_u32_e32 vcc, v6, v7
	v_lshl_add_u32 v2, v7, 8, v0
	s_and_b64 s[8:9], vcc, exec
	s_or_saveexec_b64 s[6:7], s[6:7]
	v_mov_b32_e32 v1, s12
	s_xor_b64 exec, exec, s[6:7]
	s_cbranch_execz .LBB5_39
.LBB5_43:
	v_mov_b32_e32 v1, s12
	s_or_b64 s[8:9], s[8:9], exec
	v_mov_b32_e32 v2, v0
	s_or_b64 exec, exec, s[6:7]
	s_and_b64 exec, exec, s[8:9]
	s_cbranch_execz .LBB5_46
.LBB5_44:
	v_mov_b32_e32 v3, 0
	v_lshlrev_b64 v[4:5], 2, v[2:3]
	v_lshl_add_u32 v1, v2, 2, v1
	v_mov_b32_e32 v3, s23
	v_add_co_u32_e32 v4, vcc, s22, v4
	v_add3_u32 v1, v1, 0, 8
	v_addc_co_u32_e32 v5, vcc, v3, v5, vcc
	s_mov_b64 s[6:7], 0
.LBB5_45:                               ; =>This Inner Loop Header: Depth=1
	global_load_dword v3, v[4:5], off
	v_add_co_u32_e32 v4, vcc, 0x400, v4
	v_add_u32_e32 v2, 0x100, v2
	v_addc_co_u32_e32 v5, vcc, 0, v5, vcc
	v_cmp_le_i32_e32 vcc, s41, v2
	s_or_b64 s[6:7], vcc, s[6:7]
	s_waitcnt vmcnt(0)
	ds_write_b32 v1, v3
	v_add_u32_e32 v1, 0x400, v1
	s_andn2_b64 exec, exec, s[6:7]
	s_cbranch_execnz .LBB5_45
.LBB5_46:
	s_or_b64 exec, exec, s[4:5]
	s_add_i32 s20, s13, 4
	s_cmp_lg_u32 s56, 0
	s_waitcnt lgkmcnt(0)
	s_barrier
	s_cbranch_scc1 .LBB5_57
; %bb.47:
	s_mov_b32 s14, 0
	s_cmp_lt_i32 s41, 1
	v_mov_b32_e32 v2, 0
	s_cbranch_scc1 .LBB5_54
; %bb.48:
	v_lshlrev_b32_e32 v2, 2, v12
	v_and_b32_e32 v3, 0xc0, v2
	v_cmp_eq_u32_e32 vcc, 0, v12
	s_add_i32 s15, s45, -1
	v_add_u32_e32 v1, -4, v3
	v_cmp_lt_u32_e64 s[4:5], 15, v12
	v_add_u32_e32 v3, 0xffffffbc, v3
	v_cmp_lt_u32_e64 s[6:7], 31, v12
	v_add_u32_e32 v4, 0, v2
	s_branch .LBB5_50
.LBB5_49:                               ;   in Loop: Header=BB5_50 Depth=1
	s_or_b64 exec, exec, s[10:11]
	s_add_i32 s14, s14, 64
	s_cmp_lt_i32 s14, s41
	v_add_u32_e32 v4, 0x100, v4
	s_waitcnt lgkmcnt(0)
	s_cbranch_scc0 .LBB5_54
.LBB5_50:                               ; =>This Inner Loop Header: Depth=1
	ds_read_b32 v7, v4 offset:4
	v_mov_b32_e32 v2, s14
	v_add_u32_e32 v5, s12, v4
	ds_read_b32 v6, v5 offset:8
	v_cndmask_b32_e32 v2, 0, v2, vcc
	s_waitcnt lgkmcnt(1)
	v_add_u32_e32 v7, s15, v7
	v_lshlrev_b32_e32 v2, 2, v2
	v_mul_hi_u32 v14, v7, s46
	v_add_u32_e32 v13, 0, v2
	v_add_u32_e32 v7, v7, v14
	v_lshrrev_b32_e32 v14, s47, v7
	v_add_u32_e32 v2, s20, v2
	ds_read_b32 v13, v13
	ds_read_b32 v7, v2
	v_mul_lo_u32 v2, v14, s45
	s_waitcnt lgkmcnt(2)
	v_cmp_ne_u32_e64 s[8:9], 0, v6
	v_cndmask_b32_e64 v2, 0, v2, s[8:9]
	s_waitcnt lgkmcnt(1)
	v_add_u32_e32 v2, v2, v13
	v_add_u32_e32 v14, s14, v12
	v_cmp_gt_i32_e64 s[8:9], s41, v14
	v_add_u32_dpp v2, v2, v2 row_shr:1 row_mask:0xf bank_mask:0xf bound_ctrl:1
	s_nop 1
	v_add_u32_dpp v2, v2, v2 row_shr:2 row_mask:0xf bank_mask:0xf bound_ctrl:1
	s_nop 1
	;; [unrolled: 2-line block ×3, first 2 shown]
	v_add_u32_dpp v2, v2, v2 row_shr:8 row_mask:0xf bank_mask:0xf bound_ctrl:1
	ds_bpermute_b32 v13, v1, v2
	s_waitcnt lgkmcnt(0)
	v_cndmask_b32_e64 v13, 0, v13, s[4:5]
	v_add_u32_e32 v2, v2, v13
	ds_bpermute_b32 v13, v3, v2
	s_waitcnt lgkmcnt(0)
	v_cndmask_b32_e64 v13, 0, v13, s[6:7]
	v_add_u32_e32 v2, v2, v13
	s_and_saveexec_b64 s[10:11], s[8:9]
	s_cbranch_execz .LBB5_52
; %bb.51:                               ;   in Loop: Header=BB5_50 Depth=1
	ds_write_b32 v4, v2 offset:4
.LBB5_52:                               ;   in Loop: Header=BB5_50 Depth=1
	s_or_b64 exec, exec, s[10:11]
	v_add_u32_e32 v6, v6, v7
	s_nop 1
	v_add_u32_dpp v6, v6, v6 row_shr:1 row_mask:0xf bank_mask:0xf bound_ctrl:1
	s_nop 1
	v_add_u32_dpp v6, v6, v6 row_shr:2 row_mask:0xf bank_mask:0xf bound_ctrl:1
	;; [unrolled: 2-line block ×4, first 2 shown]
	ds_bpermute_b32 v7, v1, v6
	s_waitcnt lgkmcnt(0)
	v_cndmask_b32_e64 v7, 0, v7, s[4:5]
	v_add_u32_e32 v6, v7, v6
	ds_bpermute_b32 v7, v3, v6
	s_and_saveexec_b64 s[10:11], s[8:9]
	s_cbranch_execz .LBB5_49
; %bb.53:                               ;   in Loop: Header=BB5_50 Depth=1
	s_waitcnt lgkmcnt(0)
	v_cndmask_b32_e64 v7, 0, v7, s[6:7]
	v_add_u32_e32 v6, v7, v6
	ds_write_b32 v5, v6 offset:8
	s_branch .LBB5_49
.LBB5_54:
	v_add_u32_e32 v1, s14, v12
	v_subrev_u32_e32 v1, 63, v1
	v_cmp_eq_u32_e32 vcc, s41, v1
	s_and_saveexec_b64 s[4:5], vcc
	s_cbranch_execz .LBB5_56
; %bb.55:
	v_mov_b32_e32 v1, 0
	v_mov_b32_e32 v3, s40
	global_store_dwordx2 v1, v[2:3], s[30:31]
.LBB5_56:
	s_or_b64 exec, exec, s[4:5]
.LBB5_57:
	s_cmp_eq_u64 s[38:39], 0
	s_barrier
	s_cbranch_scc1 .LBB5_64
; %bb.58:
	s_mul_i32 s10, s48, s40
	v_cmp_gt_i32_e32 vcc, s10, v0
	s_and_saveexec_b64 s[6:7], vcc
	s_cbranch_execz .LBB5_63
; %bb.59:
	v_lshlrev_b32_e32 v1, 2, v0
	v_mov_b32_e32 v3, s53
	v_add_co_u32_e32 v2, vcc, s52, v1
	v_addc_co_u32_e32 v3, vcc, 0, v3, vcc
	v_mov_b32_e32 v5, s39
	v_add_co_u32_e32 v4, vcc, s38, v1
	v_addc_co_u32_e32 v5, vcc, 0, v5, vcc
	s_mov_b64 s[8:9], 0
	v_mov_b32_e32 v1, s23
	v_mov_b32_e32 v13, v0
	s_branch .LBB5_61
.LBB5_60:                               ;   in Loop: Header=BB5_61 Depth=1
	s_or_b64 exec, exec, s[4:5]
	v_add_co_u32_e32 v2, vcc, 0x400, v2
	v_add_u32_e32 v13, 0x100, v13
	v_addc_co_u32_e32 v3, vcc, 0, v3, vcc
	s_waitcnt lgkmcnt(0)
	global_store_dword v[4:5], v7, off
	v_add_co_u32_e32 v4, vcc, 0x400, v4
	v_cmp_le_i32_e64 s[4:5], s10, v13
	s_or_b64 s[8:9], s[4:5], s[8:9]
	v_addc_co_u32_e32 v5, vcc, 0, v5, vcc
	s_andn2_b64 exec, exec, s[8:9]
	s_cbranch_execz .LBB5_63
.LBB5_61:                               ; =>This Inner Loop Header: Depth=1
	global_load_dword v6, v[2:3], off
	s_waitcnt vmcnt(0)
	v_ashrrev_i32_e32 v7, 31, v6
	v_lshlrev_b64 v[14:15], 2, v[6:7]
	v_add_co_u32_e32 v14, vcc, s22, v14
	v_addc_co_u32_e32 v15, vcc, v1, v15, vcc
	global_load_dword v7, v[14:15], off
	s_waitcnt vmcnt(0)
	v_cmp_ne_u32_e32 vcc, 0, v7
	v_mov_b32_e32 v7, -1
	s_and_saveexec_b64 s[4:5], vcc
	s_cbranch_execz .LBB5_60
; %bb.62:                               ;   in Loop: Header=BB5_61 Depth=1
	v_lshl_add_u32 v6, v6, 2, s20
	ds_read_b32 v7, v6
	s_branch .LBB5_60
.LBB5_63:
	s_or_b64 exec, exec, s[6:7]
	s_barrier
.LBB5_64:
	s_and_saveexec_b64 s[6:7], s[2:3]
	s_cbranch_execz .LBB5_71
; %bb.65:
	s_mov_b64 s[8:9], 0
	v_mov_b32_e32 v3, 0
	v_mov_b32_e32 v4, v0
	s_branch .LBB5_67
.LBB5_66:                               ;   in Loop: Header=BB5_67 Depth=1
	s_or_b64 exec, exec, s[10:11]
	v_add_u32_e32 v4, 0x100, v4
	v_cmp_le_i32_e32 vcc, s41, v4
	s_or_b64 s[8:9], vcc, s[8:9]
	s_andn2_b64 exec, exec, s[8:9]
	s_cbranch_execz .LBB5_71
.LBB5_67:                               ; =>This Loop Header: Depth=1
                                        ;     Child Loop BB5_70 Depth 2
	s_waitcnt lgkmcnt(1)
	v_lshlrev_b32_e32 v1, 2, v4
	v_add_u32_e32 v2, 0, v1
	ds_read2_b32 v[6:7], v2 offset1:1
	v_add_u32_e32 v2, s20, v1
	ds_read_b32 v1, v2
	s_waitcnt lgkmcnt(1)
	v_cmp_ne_u32_e32 vcc, v6, v7
	ds_write_b32 v2, v6
	s_and_saveexec_b64 s[10:11], vcc
	s_cbranch_execz .LBB5_66
; %bb.68:                               ;   in Loop: Header=BB5_67 Depth=1
	v_mov_b32_e32 v5, v3
	v_lshlrev_b64 v[14:15], 2, v[4:5]
	v_mov_b32_e32 v2, s23
	v_add_co_u32_e32 v14, vcc, s22, v14
	v_addc_co_u32_e32 v15, vcc, v2, v15, vcc
	global_load_dword v2, v[14:15], off
	v_cmp_lt_i32_e64 s[4:5], v6, v7
	s_waitcnt vmcnt(0)
	v_cmp_ne_u32_e32 vcc, 0, v2
	s_and_b64 s[4:5], s[4:5], vcc
	s_and_b64 exec, exec, s[4:5]
	s_cbranch_execz .LBB5_66
; %bb.69:                               ;   in Loop: Header=BB5_67 Depth=1
	s_mov_b64 s[4:5], 0
.LBB5_70:                               ;   Parent Loop BB5_67 Depth=1
                                        ; =>  This Inner Loop Header: Depth=2
	v_mul_hi_u32 v2, s46, v6
	v_add_u32_e32 v2, v6, v2
	v_add_u32_e32 v6, s45, v6
	v_lshrrev_b32_e32 v2, s47, v2
	v_cmp_ge_i32_e32 vcc, v6, v7
	v_lshlrev_b64 v[14:15], 2, v[2:3]
	v_mov_b32_e32 v5, s29
	s_or_b64 s[4:5], vcc, s[4:5]
	v_add_co_u32_e32 v14, vcc, s28, v14
	v_addc_co_u32_e32 v15, vcc, v5, v15, vcc
	s_waitcnt lgkmcnt(1)
	global_store_dword v[14:15], v1, off
	s_andn2_b64 exec, exec, s[4:5]
	s_cbranch_execnz .LBB5_70
	s_branch .LBB5_66
.LBB5_71:
	s_or_b64 exec, exec, s[6:7]
	s_waitcnt lgkmcnt(1)
	v_mov_b32_e32 v1, s13
	s_waitcnt lgkmcnt(0)
	s_barrier
	ds_read_b32 v1, v1
	s_add_i32 s4, s13, s12
	v_mov_b32_e32 v2, s4
	s_andn2_b64 vcc, exec, s[34:35]
	s_waitcnt lgkmcnt(0)
	ds_write_b32 v2, v1 offset:4
	s_cbranch_vccnz .LBB5_85
; %bb.72:
	s_add_u32 s28, s24, -4
	s_addc_u32 s29, s25, -1
	s_add_u32 s30, s54, -4
	s_addc_u32 s31, s55, -1
	;; [unrolled: 2-line block ×3, first 2 shown]
	s_lshl_b32 s6, s41, 3
	v_and_b32_e32 v1, 8, v12
	v_add3_u32 v2, v10, s6, v11
	s_lshl_b32 s37, s41, 5
	v_cmp_gt_i32_e32 vcc, s33, v9
	s_mov_b32 s21, 0
	v_cmp_eq_u32_e64 s[4:5], 0, v1
	v_lshl_or_b32 v1, v0, 2, 28
	v_mul_lo_u32 v4, s48, v9
	s_lshl_b32 s36, s48, 3
	v_add3_u32 v5, v2, 0, 8
	s_add_i32 s37, s37, 32
	v_mov_b32_e32 v3, 0
	s_mov_b32 s38, 0x4020100
	s_branch .LBB5_74
.LBB5_73:                               ;   in Loop: Header=BB5_74 Depth=1
	s_or_b64 exec, exec, s[10:11]
	s_add_i32 s21, s21, s33
	s_cmp_ge_i32 s21, s40
	v_add_u32_e32 v4, s51, v4
	s_waitcnt lgkmcnt(0)
	s_barrier
	s_cbranch_scc1 .LBB5_85
.LBB5_74:                               ; =>This Loop Header: Depth=1
                                        ;     Child Loop BB5_79 Depth 2
                                        ;       Child Loop BB5_83 Depth 3
	s_and_saveexec_b64 s[10:11], s[0:1]
	s_cbranch_execz .LBB5_73
; %bb.75:                               ;   in Loop: Header=BB5_74 Depth=1
	s_mov_b64 s[12:13], 0
	v_mov_b32_e32 v6, v5
	v_mov_b32_e32 v2, v8
	s_branch .LBB5_79
.LBB5_76:                               ;   in Loop: Header=BB5_79 Depth=2
	s_or_b64 exec, exec, s[18:19]
.LBB5_77:                               ;   in Loop: Header=BB5_79 Depth=2
	s_or_b64 exec, exec, s[16:17]
	s_waitcnt lgkmcnt(0)
	ds_write_b32 v7, v10
.LBB5_78:                               ;   in Loop: Header=BB5_79 Depth=2
	s_or_b64 exec, exec, s[14:15]
	v_add_u32_e32 v2, 32, v2
	v_cmp_le_i32_e64 s[6:7], s41, v2
	s_or_b64 s[12:13], s[6:7], s[12:13]
	v_add_u32_e32 v6, 0x80, v6
	s_andn2_b64 exec, exec, s[12:13]
	s_cbranch_execz .LBB5_73
.LBB5_79:                               ;   Parent Loop BB5_74 Depth=1
                                        ; =>  This Loop Header: Depth=2
                                        ;       Child Loop BB5_83 Depth 3
	v_lshlrev_b64 v[10:11], 2, v[2:3]
	v_mov_b32_e32 v7, s23
	v_add_co_u32_e64 v10, s[6:7], s22, v10
	v_addc_co_u32_e64 v11, s[6:7], v7, v11, s[6:7]
	global_load_dword v7, v[10:11], off
	s_waitcnt vmcnt(0)
	v_cmp_ne_u32_e64 s[6:7], 0, v7
	s_and_saveexec_b64 s[14:15], s[6:7]
	s_cbranch_execz .LBB5_78
; %bb.80:                               ;   in Loop: Header=BB5_79 Depth=2
	v_lshl_add_u32 v7, v2, 2, 0
	ds_read_b32 v10, v7
	s_and_saveexec_b64 s[16:17], vcc
	s_cbranch_execz .LBB5_77
; %bb.81:                               ;   in Loop: Header=BB5_79 Depth=2
	s_mov_b64 s[18:19], 0
	v_mov_b32_e32 v11, v6
	v_mov_b32_e32 v12, v4
	;; [unrolled: 1-line block ×3, first 2 shown]
	s_branch .LBB5_83
.LBB5_82:                               ;   in Loop: Header=BB5_83 Depth=3
	s_or_b64 exec, exec, s[8:9]
	ds_bpermute_b32 v14, v1, v14
	v_add_u32_e32 v13, 8, v13
	v_cmp_le_i32_e64 s[6:7], s33, v13
	v_add_u32_e32 v12, s36, v12
	s_or_b64 s[18:19], s[6:7], s[18:19]
	s_waitcnt lgkmcnt(0)
	v_add_u32_e32 v10, v14, v10
	v_add_u32_e32 v11, s37, v11
	s_andn2_b64 exec, exec, s[18:19]
	s_cbranch_execz .LBB5_76
.LBB5_83:                               ;   Parent Loop BB5_74 Depth=1
                                        ;     Parent Loop BB5_79 Depth=2
                                        ; =>    This Inner Loop Header: Depth=3
	ds_read_b32 v15, v11
	s_waitcnt lgkmcnt(0)
	v_cmp_ne_u32_e64 s[6:7], 0, v15
	v_cndmask_b32_e64 v14, 0, 1, s[6:7]
	s_nop 1
	v_mov_b32_dpp v14, v14 row_shr:1 row_mask:0xf bank_mask:0xf bound_ctrl:1
	v_addc_co_u32_e64 v16, s[8:9], 0, v14, s[6:7]
	s_nop 1
	v_mov_b32_dpp v16, v16 row_shr:2 row_mask:0xf bank_mask:0xf bound_ctrl:1
	v_addc_co_u32_e64 v14, s[8:9], v16, v14, s[6:7]
	s_nop 1
	v_add_u32_dpp v14, v14, v14 row_shr:4 row_mask:0xf bank_mask:0xf bound_ctrl:1
	s_nop 1
	v_add_u32_dpp v14, v14, v14 row_shr:8 row_mask:0xf bank_mask:0xf bound_ctrl:1
	s_nop 1
	v_mov_b32_dpp v16, v14 row_newbcast:7 row_mask:0xf bank_mask:0xf bound_ctrl:1
	v_cndmask_b32_e64 v16, v16, 0, s[4:5]
	v_sub_u32_e32 v14, v14, v16
	s_and_saveexec_b64 s[8:9], s[6:7]
	s_cbranch_execz .LBB5_82
; %bb.84:                               ;   in Loop: Header=BB5_83 Depth=3
	v_add_u32_e32 v16, v12, v15
	v_ashrrev_i32_e32 v17, 31, v16
	v_lshlrev_b64 v[16:17], 2, v[16:17]
	v_mov_b32_e32 v18, s31
	v_add_co_u32_e64 v16, s[6:7], s30, v16
	v_addc_co_u32_e64 v17, s[6:7], v18, v17, s[6:7]
	global_load_dword v20, v[16:17], off
	v_add_u32_e32 v16, s21, v13
	v_perm_b32 v15, v15, v16, s38
	v_add_u32_e32 v16, v14, v10
	v_ashrrev_i32_e32 v17, 31, v16
	v_lshlrev_b64 v[16:17], 2, v[16:17]
	v_mov_b32_e32 v19, s29
	v_add_co_u32_e64 v18, s[6:7], s28, v16
	v_add_u32_e32 v15, 0xff000000, v15
	v_addc_co_u32_e64 v19, s[6:7], v19, v17, s[6:7]
	global_store_dword v[18:19], v15, off
	v_mov_b32_e32 v15, s35
	v_add_co_u32_e64 v16, s[6:7], s34, v16
	v_addc_co_u32_e64 v17, s[6:7], v15, v17, s[6:7]
	s_waitcnt vmcnt(1)
	global_store_dword v[16:17], v20, off
	s_branch .LBB5_82
.LBB5_85:
	s_and_saveexec_b64 s[0:1], s[2:3]
	s_cbranch_execz .LBB5_96
; %bb.86:
	s_and_b32 s0, s40, 0xffffff
	s_lshl_b32 s1, s48, 24
	s_or_b32 s4, s1, s0
	s_mov_b32 s5, s4
	s_add_i32 s20, s20, 4
	s_mov_b64 s[2:3], 0
	s_mov_b32 s8, 0
	v_mov_b32_e32 v1, 0
	s_branch .LBB5_88
.LBB5_87:                               ;   in Loop: Header=BB5_88 Depth=1
	s_or_b64 exec, exec, s[12:13]
	v_add_u32_e32 v0, 0x100, v0
	v_cmp_le_i32_e32 vcc, s41, v0
	s_or_b64 s[2:3], vcc, s[2:3]
	s_andn2_b64 exec, exec, s[2:3]
	s_cbranch_execz .LBB5_96
.LBB5_88:                               ; =>This Loop Header: Depth=1
                                        ;     Child Loop BB5_91 Depth 2
                                        ;     Child Loop BB5_95 Depth 2
	v_lshlrev_b32_e32 v2, 2, v0
	v_add_u32_e32 v3, 0, v2
	v_add_u32_e32 v4, s20, v2
	ds_read_b32 v2, v3
	ds_read_b32 v8, v4
	s_waitcnt lgkmcnt(0)
	v_cmp_gt_i32_e32 vcc, v8, v2
	s_and_saveexec_b64 s[12:13], vcc
	s_cbranch_execz .LBB5_87
; %bb.89:                               ;   in Loop: Header=BB5_88 Depth=1
	v_sub_u32_e32 v3, v8, v2
	v_cmp_lt_u32_e32 vcc, 15, v3
	s_mov_b64 s[6:7], -1
	s_and_saveexec_b64 s[0:1], vcc
	s_cbranch_execz .LBB5_93
; %bb.90:                               ;   in Loop: Header=BB5_88 Depth=1
	v_and_b32_e32 v6, -16, v3
	s_mov_b64 s[14:15], 0
	v_mov_b32_e32 v4, v2
	v_mov_b32_e32 v7, v6
.LBB5_91:                               ;   Parent Loop BB5_88 Depth=1
                                        ; =>  This Inner Loop Header: Depth=2
	v_ashrrev_i32_e32 v5, 31, v4
	v_lshlrev_b64 v[14:15], 2, v[4:5]
	v_mov_b32_e32 v5, s25
	v_add_co_u32_e32 v16, vcc, s24, v14
	v_addc_co_u32_e32 v17, vcc, v5, v15, vcc
	s_mov_b32 s6, s4
	s_mov_b32 s7, s5
	v_pk_mov_b32 v[12:13], s[6:7], s[6:7] op_sel:[0,1]
	v_mov_b32_e32 v5, s27
	v_add_co_u32_e32 v14, vcc, s26, v14
	v_pk_mov_b32 v[10:11], s[4:5], s[4:5] op_sel:[0,1]
	v_addc_co_u32_e32 v15, vcc, v5, v15, vcc
	s_mov_b32 s10, s8
	s_mov_b32 s11, s8
	v_add_u32_e32 v7, -16, v7
	global_store_dwordx4 v[16:17], v[10:13], off
	global_store_dwordx4 v[16:17], v[10:13], off offset:16
	global_store_dwordx4 v[16:17], v[10:13], off offset:32
	;; [unrolled: 1-line block ×3, first 2 shown]
	s_mov_b32 s9, s8
	v_pk_mov_b32 v[12:13], s[10:11], s[10:11] op_sel:[0,1]
	v_cmp_eq_u32_e32 vcc, 0, v7
	v_pk_mov_b32 v[10:11], s[8:9], s[8:9] op_sel:[0,1]
	s_or_b64 s[14:15], vcc, s[14:15]
	v_add_u32_e32 v4, 16, v4
	global_store_dwordx4 v[14:15], v[10:13], off
	global_store_dwordx4 v[14:15], v[10:13], off offset:16
	global_store_dwordx4 v[14:15], v[10:13], off offset:32
	;; [unrolled: 1-line block ×3, first 2 shown]
	s_andn2_b64 exec, exec, s[14:15]
	s_cbranch_execnz .LBB5_91
; %bb.92:                               ;   in Loop: Header=BB5_88 Depth=1
	s_or_b64 exec, exec, s[14:15]
	v_cmp_ne_u32_e32 vcc, v3, v6
	v_add_u32_e32 v2, v2, v6
	s_orn2_b64 s[6:7], vcc, exec
.LBB5_93:                               ;   in Loop: Header=BB5_88 Depth=1
	s_or_b64 exec, exec, s[0:1]
	s_and_b64 exec, exec, s[6:7]
	s_cbranch_execz .LBB5_87
; %bb.94:                               ;   in Loop: Header=BB5_88 Depth=1
	v_ashrrev_i32_e32 v3, 31, v2
	v_lshlrev_b64 v[6:7], 2, v[2:3]
	v_mov_b32_e32 v3, s25
	v_add_co_u32_e32 v4, vcc, s24, v6
	v_addc_co_u32_e32 v5, vcc, v3, v7, vcc
	v_mov_b32_e32 v3, s27
	v_add_co_u32_e32 v6, vcc, s26, v6
	v_addc_co_u32_e32 v7, vcc, v3, v7, vcc
	s_mov_b64 s[6:7], 0
.LBB5_95:                               ;   Parent Loop BB5_88 Depth=1
                                        ; =>  This Inner Loop Header: Depth=2
	global_store_dword v[6:7], v1, off
	v_add_co_u32_e32 v6, vcc, 4, v6
	v_mov_b32_e32 v3, s4
	v_add_u32_e32 v2, 1, v2
	v_addc_co_u32_e32 v7, vcc, 0, v7, vcc
	global_store_dword v[4:5], v3, off
	v_cmp_ge_i32_e32 vcc, v2, v8
	v_add_co_u32_e64 v4, s[0:1], 4, v4
	s_or_b64 s[6:7], vcc, s[6:7]
	v_addc_co_u32_e64 v5, vcc, 0, v5, s[0:1]
	s_andn2_b64 exec, exec, s[6:7]
	s_cbranch_execnz .LBB5_95
	s_branch .LBB5_87
.LBB5_96:
	s_endpgm
	.section	.rodata,"a",@progbits
	.p2align	6, 0x0
	.amdhsa_kernel _ZN5aiter22opus_moe_sorting_entryINS_16MoeSortingKernelINS_19MoeSortingProblemExIifLi8ELb1ELb1ELb0ELb1ELi0EEEEENS4_5KargsEEEvT0_
		.amdhsa_group_segment_fixed_size 0
		.amdhsa_private_segment_fixed_size 0
		.amdhsa_kernarg_size 400
		.amdhsa_user_sgpr_count 6
		.amdhsa_user_sgpr_private_segment_buffer 1
		.amdhsa_user_sgpr_dispatch_ptr 0
		.amdhsa_user_sgpr_queue_ptr 0
		.amdhsa_user_sgpr_kernarg_segment_ptr 1
		.amdhsa_user_sgpr_dispatch_id 0
		.amdhsa_user_sgpr_flat_scratch_init 0
		.amdhsa_user_sgpr_kernarg_preload_length 0
		.amdhsa_user_sgpr_kernarg_preload_offset 0
		.amdhsa_user_sgpr_private_segment_size 0
		.amdhsa_uses_dynamic_stack 0
		.amdhsa_system_sgpr_private_segment_wavefront_offset 0
		.amdhsa_system_sgpr_workgroup_id_x 1
		.amdhsa_system_sgpr_workgroup_id_y 0
		.amdhsa_system_sgpr_workgroup_id_z 0
		.amdhsa_system_sgpr_workgroup_info 0
		.amdhsa_system_vgpr_workitem_id 0
		.amdhsa_next_free_vgpr 29
		.amdhsa_next_free_sgpr 58
		.amdhsa_accum_offset 32
		.amdhsa_reserve_vcc 1
		.amdhsa_reserve_flat_scratch 0
		.amdhsa_float_round_mode_32 0
		.amdhsa_float_round_mode_16_64 0
		.amdhsa_float_denorm_mode_32 3
		.amdhsa_float_denorm_mode_16_64 3
		.amdhsa_dx10_clamp 1
		.amdhsa_ieee_mode 1
		.amdhsa_fp16_overflow 0
		.amdhsa_tg_split 0
		.amdhsa_exception_fp_ieee_invalid_op 0
		.amdhsa_exception_fp_denorm_src 0
		.amdhsa_exception_fp_ieee_div_zero 0
		.amdhsa_exception_fp_ieee_overflow 0
		.amdhsa_exception_fp_ieee_underflow 0
		.amdhsa_exception_fp_ieee_inexact 0
		.amdhsa_exception_int_div_zero 0
	.end_amdhsa_kernel
	.section	.text._ZN5aiter22opus_moe_sorting_entryINS_16MoeSortingKernelINS_19MoeSortingProblemExIifLi8ELb1ELb1ELb0ELb1ELi0EEEEENS4_5KargsEEEvT0_,"axG",@progbits,_ZN5aiter22opus_moe_sorting_entryINS_16MoeSortingKernelINS_19MoeSortingProblemExIifLi8ELb1ELb1ELb0ELb1ELi0EEEEENS4_5KargsEEEvT0_,comdat
.Lfunc_end5:
	.size	_ZN5aiter22opus_moe_sorting_entryINS_16MoeSortingKernelINS_19MoeSortingProblemExIifLi8ELb1ELb1ELb0ELb1ELi0EEEEENS4_5KargsEEEvT0_, .Lfunc_end5-_ZN5aiter22opus_moe_sorting_entryINS_16MoeSortingKernelINS_19MoeSortingProblemExIifLi8ELb1ELb1ELb0ELb1ELi0EEEEENS4_5KargsEEEvT0_
                                        ; -- End function
	.section	.AMDGPU.csdata,"",@progbits
; Kernel info:
; codeLenInByte = 4704
; NumSgprs: 62
; NumVgprs: 29
; NumAgprs: 0
; TotalNumVgprs: 29
; ScratchSize: 0
; MemoryBound: 0
; FloatMode: 240
; IeeeMode: 1
; LDSByteSize: 0 bytes/workgroup (compile time only)
; SGPRBlocks: 7
; VGPRBlocks: 3
; NumSGPRsForWavesPerEU: 62
; NumVGPRsForWavesPerEU: 29
; AccumOffset: 32
; Occupancy: 8
; WaveLimiterHint : 1
; COMPUTE_PGM_RSRC2:SCRATCH_EN: 0
; COMPUTE_PGM_RSRC2:USER_SGPR: 6
; COMPUTE_PGM_RSRC2:TRAP_HANDLER: 0
; COMPUTE_PGM_RSRC2:TGID_X_EN: 1
; COMPUTE_PGM_RSRC2:TGID_Y_EN: 0
; COMPUTE_PGM_RSRC2:TGID_Z_EN: 0
; COMPUTE_PGM_RSRC2:TIDIG_COMP_CNT: 0
; COMPUTE_PGM_RSRC3_GFX90A:ACCUM_OFFSET: 7
; COMPUTE_PGM_RSRC3_GFX90A:TG_SPLIT: 0
	.section	.text._ZN5aiter22opus_moe_sorting_entryINS_16MoeSortingKernelINS_19MoeSortingProblemExIifLi4ELb1ELb1ELb0ELb1ELi0EEEEENS4_5KargsEEEvT0_,"axG",@progbits,_ZN5aiter22opus_moe_sorting_entryINS_16MoeSortingKernelINS_19MoeSortingProblemExIifLi4ELb1ELb1ELb0ELb1ELi0EEEEENS4_5KargsEEEvT0_,comdat
	.protected	_ZN5aiter22opus_moe_sorting_entryINS_16MoeSortingKernelINS_19MoeSortingProblemExIifLi4ELb1ELb1ELb0ELb1ELi0EEEEENS4_5KargsEEEvT0_ ; -- Begin function _ZN5aiter22opus_moe_sorting_entryINS_16MoeSortingKernelINS_19MoeSortingProblemExIifLi4ELb1ELb1ELb0ELb1ELi0EEEEENS4_5KargsEEEvT0_
	.globl	_ZN5aiter22opus_moe_sorting_entryINS_16MoeSortingKernelINS_19MoeSortingProblemExIifLi4ELb1ELb1ELb0ELb1ELi0EEEEENS4_5KargsEEEvT0_
	.p2align	8
	.type	_ZN5aiter22opus_moe_sorting_entryINS_16MoeSortingKernelINS_19MoeSortingProblemExIifLi4ELb1ELb1ELb0ELb1ELi0EEEEENS4_5KargsEEEvT0_,@function
_ZN5aiter22opus_moe_sorting_entryINS_16MoeSortingKernelINS_19MoeSortingProblemExIifLi4ELb1ELb1ELb0ELb1ELi0EEEEENS4_5KargsEEEvT0_: ; @_ZN5aiter22opus_moe_sorting_entryINS_16MoeSortingKernelINS_19MoeSortingProblemExIifLi4ELb1ELb1ELb0ELb1ELi0EEEEENS4_5KargsEEEvT0_
; %bb.0:
	s_load_dwordx8 s[16:23], s[4:5], 0x20
	s_load_dwordx8 s[24:31], s[4:5], 0x40
	s_cmp_eq_u32 s6, 0
	s_cbranch_scc1 .LBB6_7
; %bb.1:
	s_waitcnt lgkmcnt(0)
	s_cmp_eq_u64 s[24:25], 0
	s_mov_b64 s[2:3], 0
	s_cbranch_scc1 .LBB6_6
; %bb.2:
	s_mul_i32 s1, s30, s28
	s_ashr_i32 s7, s31, 31
	s_mul_hi_i32 s0, s30, s28
	s_mul_i32 s7, s1, s7
	s_mul_hi_u32 s8, s1, s31
	s_add_i32 s7, s8, s7
	s_mul_i32 s0, s0, s31
	s_add_i32 s8, s7, s0
	s_ashr_i32 s0, s8, 31
	s_mul_i32 s1, s1, s31
	s_lshr_b32 s0, s0, 28
	s_add_u32 s0, s1, s0
	s_addc_u32 s1, s8, 0
	v_lshl_add_u32 v1, s6, 8, v0
	s_ashr_i64 s[8:9], s[0:1], 4
	v_add_u32_e32 v2, 0xffffff00, v1
	v_mov_b32_e32 v3, 0
	s_mov_b32 s7, 0
	v_cmp_gt_i64_e32 vcc, s[8:9], v[2:3]
	s_and_saveexec_b64 s[10:11], vcc
	s_cbranch_execz .LBB6_5
; %bb.3:
	s_load_dword s0, s[4:5], 0x90
	v_lshlrev_b64 v[4:5], 4, v[2:3]
	v_mov_b32_e32 v1, s25
	v_add_co_u32_e32 v8, vcc, s24, v4
	s_waitcnt lgkmcnt(0)
	s_lshl_b32 s0, s0, 8
	s_add_i32 s6, s0, 0xffffff00
	s_lshl_b64 s[12:13], s[6:7], 4
	v_pk_mov_b32 v[6:7], v[2:3], v[2:3] op_sel:[0,1]
	v_addc_co_u32_e32 v9, vcc, v1, v5, vcc
	s_mov_b64 s[14:15], 0
	v_mov_b32_e32 v2, v3
	v_mov_b32_e32 v4, v3
	;; [unrolled: 1-line block ×5, first 2 shown]
.LBB6_4:                                ; =>This Inner Loop Header: Depth=1
	v_add_co_u32_e32 v6, vcc, s6, v6
	v_addc_co_u32_e32 v7, vcc, v7, v1, vcc
	global_store_dwordx4 v[8:9], v[2:5], off
	v_add_co_u32_e32 v8, vcc, s12, v8
	v_cmp_le_i64_e64 s[0:1], s[8:9], v[6:7]
	s_or_b64 s[14:15], s[0:1], s[14:15]
	v_addc_co_u32_e32 v9, vcc, v9, v10, vcc
	s_andn2_b64 exec, exec, s[14:15]
	s_cbranch_execnz .LBB6_4
.LBB6_5:
	s_or_b64 exec, exec, s[10:11]
.LBB6_6:
	s_andn2_b64 vcc, exec, s[2:3]
	s_cbranch_vccz .LBB6_8
	s_branch .LBB6_96
.LBB6_7:
.LBB6_8:
	s_load_dwordx8 s[36:43], s[4:5], 0x64
	s_load_dwordx4 s[44:47], s[4:5], 0x0
	s_load_dwordx2 s[14:15], s[4:5], 0x10
	s_load_dwordx2 s[0:1], s[4:5], 0x84
	v_lshrrev_b32_e32 v1, 6, v0
	s_waitcnt lgkmcnt(0)
	s_add_i32 s33, s36, -2
	s_mul_i32 s10, s33, s29
	v_readfirstlane_b32 s48, v1
	s_add_i32 s12, s29, 1
	v_cmp_gt_i32_e32 vcc, s10, v0
	s_and_saveexec_b64 s[2:3], vcc
	s_cbranch_execz .LBB6_18
; %bb.9:
	v_xad_u32 v2, v0, -1, s10
	s_movk_i32 s6, 0xff
	s_mov_b32 s5, 0
	s_mov_b32 s4, s0
	s_sub_i32 s0, s12, s43
	v_cmp_lt_u32_e32 vcc, s6, v2
	s_mov_b64 s[8:9], 0
                                        ; implicit-def: $vgpr1
                                        ; implicit-def: $sgpr11
	s_and_saveexec_b64 s[6:7], vcc
	s_xor_b64 s[6:7], exec, s[6:7]
	s_cbranch_execnz .LBB6_12
; %bb.10:
	s_or_saveexec_b64 s[6:7], s[6:7]
	v_mov_b32_e32 v2, s11
	s_xor_b64 exec, exec, s[6:7]
	s_cbranch_execnz .LBB6_15
.LBB6_11:
	s_or_b64 exec, exec, s[6:7]
	s_and_b64 exec, exec, s[8:9]
	s_cbranch_execnz .LBB6_16
	s_branch .LBB6_18
.LBB6_12:
	v_lshrrev_b32_e32 v1, 8, v2
	v_add_u32_e32 v4, 1, v1
	s_lshl_b32 s11, s29, 3
	v_and_b32_e32 v5, 0x1fffffe, v4
	v_add_u32_e32 v1, 0x100, v0
	s_add_i32 s8, s11, 0
	s_mov_b32 s13, s4
	s_mov_b32 s24, s1
	s_mov_b32 s25, s0
	v_lshl_add_u32 v6, v0, 2, s8
	s_mov_b64 s[8:9], 0
	v_mov_b32_e32 v7, 0
	v_mov_b32_e32 v8, v5
	v_pk_mov_b32 v[2:3], v[0:1], v[0:1] op_sel:[0,1]
.LBB6_13:                               ; =>This Inner Loop Header: Depth=1
	v_mul_hi_u32 v1, s4, v2
	v_mul_hi_u32 v9, s13, v3
	v_add_u32_e32 v9, v3, v9
	v_add_u32_e32 v1, v2, v1
	v_add_u32_e32 v8, -2, v8
	v_lshrrev_b32_e32 v1, s24, v1
	v_lshrrev_b32_e32 v9, s1, v9
	v_cmp_eq_u32_e32 vcc, 0, v8
	v_mul_lo_u32 v9, v9, s25
	v_mul_lo_u32 v1, v1, s0
	v_add_u32_e32 v3, 0x200, v3
	v_add_u32_e32 v2, 0x200, v2
	s_or_b64 s[8:9], vcc, s[8:9]
	v_lshl_add_u32 v1, v1, 2, v6
	v_lshl_add_u32 v9, v9, 2, v6
	v_add_u32_e32 v6, 0x800, v6
	ds_write_b32 v1, v7 offset:8
	ds_write_b32 v9, v7 offset:1032
	s_andn2_b64 exec, exec, s[8:9]
	s_cbranch_execnz .LBB6_13
; %bb.14:
	s_or_b64 exec, exec, s[8:9]
	v_cmp_ne_u32_e32 vcc, v4, v5
	v_lshl_add_u32 v1, v5, 8, v0
	s_and_b64 s[8:9], vcc, exec
	s_or_saveexec_b64 s[6:7], s[6:7]
	v_mov_b32_e32 v2, s11
	s_xor_b64 exec, exec, s[6:7]
	s_cbranch_execz .LBB6_11
.LBB6_15:
	s_lshl_b32 s11, s29, 3
	v_mov_b32_e32 v2, s11
	s_or_b64 s[8:9], s[8:9], exec
	v_mov_b32_e32 v1, v0
	s_or_b64 exec, exec, s[6:7]
	s_and_b64 exec, exec, s[8:9]
	s_cbranch_execz .LBB6_18
.LBB6_16:
	v_lshl_add_u32 v2, v1, 2, v2
	v_mad_u64_u32 v[4:5], s[6:7], v1, s4, 0
	s_lshl_b64 s[4:5], s[4:5], 8
	s_lshl_b32 s0, s0, 2
	v_add3_u32 v2, v2, 0, 8
	s_mov_b64 s[6:7], 0
	v_mov_b32_e32 v3, 0
	v_mov_b32_e32 v6, s5
.LBB6_17:                               ; =>This Inner Loop Header: Depth=1
	v_add_co_u32_e32 v4, vcc, s4, v4
	v_add_u32_e32 v7, v1, v5
	v_add_u32_e32 v1, 0x100, v1
	v_addc_co_u32_e32 v5, vcc, v5, v6, vcc
	v_lshrrev_b32_e32 v7, s1, v7
	v_cmp_le_i32_e32 vcc, s10, v1
	v_mad_u64_u32 v[8:9], s[8:9], s0, v7, v[2:3]
	v_add_u32_e32 v2, 0x400, v2
	s_or_b64 s[6:7], vcc, s[6:7]
	ds_write_b32 v8, v3
	s_andn2_b64 exec, exec, s[6:7]
	s_cbranch_execnz .LBB6_17
.LBB6_18:
	s_or_b64 exec, exec, s[2:3]
	s_cmp_gt_i32 s28, 0
	s_mov_b32 s3, 0
	s_cselect_b64 s[24:25], -1, 0
	s_cmp_lt_i32 s28, 1
	s_mul_i32 s43, s40, s33
	s_waitcnt lgkmcnt(0)
	s_barrier
	s_cbranch_scc1 .LBB6_26
; %bb.19:
	s_lshl_b32 s0, s12, 3
	s_mov_b32 s2, s41
	s_add_i32 s13, s0, 0
	v_cmp_gt_i32_e32 vcc, s43, v0
	s_sub_i32 s30, 0, s40
	v_mad_u64_u32 v[2:3], s[0:1], v0, s41, 0
	s_lshl_b64 s[4:5], s[2:3], 8
	v_mov_b32_e32 v5, 0
	s_mov_b32 s2, 0
	s_branch .LBB6_21
.LBB6_20:                               ;   in Loop: Header=BB6_21 Depth=1
	s_or_b64 exec, exec, s[6:7]
	s_add_i32 s2, s2, s33
	s_add_i32 s3, s3, s43
	s_cmp_ge_i32 s2, s28
	s_barrier
	s_cbranch_scc1 .LBB6_26
.LBB6_21:                               ; =>This Loop Header: Depth=1
                                        ;     Child Loop BB6_24 Depth 2
	s_and_saveexec_b64 s[6:7], vcc
	s_cbranch_execz .LBB6_20
; %bb.22:                               ;   in Loop: Header=BB6_21 Depth=1
	s_mov_b64 s[8:9], 0
	v_pk_mov_b32 v[6:7], v[2:3], v[2:3] op_sel:[0,1]
	v_mov_b32_e32 v1, v0
	s_branch .LBB6_24
.LBB6_23:                               ;   in Loop: Header=BB6_24 Depth=2
	s_or_b64 exec, exec, s[10:11]
	v_add_u32_e32 v1, 0x100, v1
	v_cmp_le_i32_e64 s[0:1], s43, v1
	v_mov_b32_e32 v4, s5
	s_or_b64 s[8:9], s[0:1], s[8:9]
	v_add_co_u32_e64 v6, s[0:1], s4, v6
	v_addc_co_u32_e64 v7, s[0:1], v7, v4, s[0:1]
	s_waitcnt lgkmcnt(0)
	s_andn2_b64 exec, exec, s[8:9]
	s_cbranch_execz .LBB6_20
.LBB6_24:                               ;   Parent Loop BB6_21 Depth=1
                                        ; =>  This Inner Loop Header: Depth=2
	v_add_u32_e32 v4, v1, v7
	v_lshrrev_b32_e32 v8, s42, v4
	v_add_u32_e32 v4, s2, v8
	v_cmp_gt_i32_e64 s[0:1], s28, v4
	s_and_saveexec_b64 s[10:11], s[0:1]
	s_cbranch_execz .LBB6_23
; %bb.25:                               ;   in Loop: Header=BB6_24 Depth=2
	v_add_u32_e32 v4, s3, v1
	v_lshlrev_b64 v[10:11], 2, v[4:5]
	v_mov_b32_e32 v4, s45
	v_add_co_u32_e64 v10, s[0:1], s44, v10
	v_addc_co_u32_e64 v11, s[0:1], v4, v11, s[0:1]
	global_load_dword v4, v[10:11], off
	v_mul_lo_u32 v9, s30, v8
	v_mul_lo_u32 v8, v8, s12
	v_lshlrev_b32_e32 v8, 2, v8
	v_add3_u32 v9, v1, v9, 1
	s_waitcnt vmcnt(0)
	v_lshlrev_b32_e32 v4, 2, v4
	v_add3_u32 v4, s13, v4, v8
	ds_write_b32 v4, v9
	s_branch .LBB6_23
.LBB6_26:
	v_cmp_eq_u32_e32 vcc, 0, v0
	s_and_saveexec_b64 s[0:1], vcc
	s_cbranch_execz .LBB6_28
; %bb.27:
	v_mov_b32_e32 v1, 0
	ds_write_b32 v1, v1
.LBB6_28:
	s_or_b64 exec, exec, s[0:1]
	v_mbcnt_lo_u32_b32 v1, -1, 0
	v_and_b32_e32 v9, 7, v0
	v_mbcnt_hi_u32_b32 v12, -1, v1
	v_lshrrev_b32_e32 v8, 3, v0
	v_mul_lo_u32 v1, s12, v9
	v_cmp_gt_i32_e64 s[0:1], s29, v8
	v_lshlrev_b32_e32 v10, 2, v8
	v_lshlrev_b32_e32 v11, 2, v1
	s_and_saveexec_b64 s[30:31], s[0:1]
	s_cbranch_execz .LBB6_36
; %bb.29:
	s_cmp_gt_i32 s36, 2
	s_mul_i32 s6, s29, 0x68
	s_cselect_b64 s[4:5], -1, 0
	s_add_i32 s6, s6, 0
	v_add_u32_e32 v4, s6, v11
	s_mul_i32 s6, s29, 0x48
	s_add_i32 s6, s6, 0
	v_add_u32_e32 v5, s6, v11
	s_mul_i32 s6, s29, 40
	s_add_i32 s6, s6, 0
	v_add3_u32 v6, s6, v11, 40
	s_lshl_b32 s6, s29, 3
	v_lshlrev_b32_e32 v3, 2, v12
	s_lshl_b32 s36, s29, 7
	s_add_i32 s6, s6, 0
	v_cndmask_b32_e64 v13, 0, 1, s[4:5]
	v_xor_b32_e32 v1, 4, v3
	v_xor_b32_e32 v2, 8, v3
	;; [unrolled: 1-line block ×3, first 2 shown]
	v_cmp_eq_u32_e64 s[2:3], 0, v9
	v_add_u32_e32 v4, 0x68, v4
	s_addk_i32 s36, 0x80
	v_add_u32_e32 v5, 0x48, v5
	v_add3_u32 v7, s6, v11, 8
	s_mov_b64 s[34:35], 0
	v_cmp_ne_u32_e64 s[4:5], 1, v13
	v_mov_b32_e32 v13, v8
	s_branch .LBB6_31
.LBB6_30:                               ;   in Loop: Header=BB6_31 Depth=1
	s_or_b64 exec, exec, s[6:7]
	v_add_u32_e32 v13, 32, v13
	v_cmp_le_i32_e32 vcc, s29, v13
	v_add_u32_e32 v4, 0x80, v4
	v_add_u32_e32 v5, 0x80, v5
	;; [unrolled: 1-line block ×3, first 2 shown]
	s_or_b64 s[34:35], vcc, s[34:35]
	v_add_u32_e32 v7, 0x80, v7
	s_andn2_b64 exec, exec, s[34:35]
	s_cbranch_execz .LBB6_36
.LBB6_31:                               ; =>This Loop Header: Depth=1
                                        ;     Child Loop BB6_33 Depth 2
	s_and_b64 vcc, exec, s[4:5]
	v_mov_b32_e32 v14, 0
	s_cbranch_vccnz .LBB6_34
; %bb.32:                               ;   in Loop: Header=BB6_31 Depth=1
	s_mov_b32 s41, 0
	v_mov_b32_e32 v14, 0
	v_mov_b32_e32 v15, v7
	v_mov_b32_e32 v16, v6
	v_mov_b32_e32 v17, v5
	v_mov_b32_e32 v18, v4
.LBB6_33:                               ;   Parent Loop BB6_31 Depth=1
                                        ; =>  This Inner Loop Header: Depth=2
	v_add_u32_e32 v19, v15, v10
	v_add_u32_e32 v20, v16, v10
	;; [unrolled: 1-line block ×4, first 2 shown]
	ds_read_b32 v19, v19
	ds_read_b32 v20, v20
	;; [unrolled: 1-line block ×4, first 2 shown]
	s_add_i32 s41, s41, 32
	s_waitcnt lgkmcnt(3)
	v_cmp_ne_u32_e32 vcc, 0, v19
	v_cndmask_b32_e64 v19, 0, 1, vcc
	s_waitcnt lgkmcnt(2)
	v_cmp_ne_u32_e64 s[6:7], 0, v20
	v_cndmask_b32_e64 v20, 0, 1, s[6:7]
	s_waitcnt lgkmcnt(1)
	v_cmp_ne_u32_e64 s[8:9], 0, v21
	ds_bpermute_b32 v19, v1, v19
	v_cndmask_b32_e64 v21, 0, 1, s[8:9]
	s_waitcnt lgkmcnt(1)
	v_cmp_ne_u32_e64 s[10:11], 0, v22
	ds_bpermute_b32 v20, v1, v20
	v_cndmask_b32_e64 v22, 0, 1, s[10:11]
	ds_bpermute_b32 v21, v1, v21
	ds_bpermute_b32 v22, v1, v22
	s_waitcnt lgkmcnt(3)
	v_addc_co_u32_e64 v23, s[12:13], 0, v19, vcc
	s_waitcnt lgkmcnt(2)
	v_addc_co_u32_e64 v24, s[12:13], 0, v20, s[6:7]
	ds_bpermute_b32 v23, v2, v23
	s_waitcnt lgkmcnt(2)
	v_addc_co_u32_e64 v25, s[12:13], 0, v21, s[8:9]
	ds_bpermute_b32 v24, v2, v24
	;; [unrolled: 3-line block ×3, first 2 shown]
	ds_bpermute_b32 v26, v2, v26
	s_waitcnt lgkmcnt(3)
	v_addc_co_u32_e32 v19, vcc, v23, v19, vcc
	s_waitcnt lgkmcnt(2)
	v_addc_co_u32_e64 v20, vcc, v24, v20, s[6:7]
	ds_bpermute_b32 v23, v3, v19
	s_waitcnt lgkmcnt(2)
	v_addc_co_u32_e64 v21, vcc, v25, v21, s[8:9]
	ds_bpermute_b32 v24, v3, v20
	;; [unrolled: 3-line block ×3, first 2 shown]
	ds_bpermute_b32 v26, v3, v22
	s_waitcnt lgkmcnt(3)
	v_add3_u32 v14, v19, v14, v23
	s_waitcnt lgkmcnt(2)
	v_add3_u32 v14, v14, v20, v24
	v_add_u32_e32 v18, s36, v18
	s_waitcnt lgkmcnt(1)
	v_add3_u32 v14, v14, v21, v25
	v_add_u32_e32 v17, s36, v17
	v_add_u32_e32 v16, s36, v16
	;; [unrolled: 1-line block ×3, first 2 shown]
	s_cmp_lt_i32 s41, s33
	s_waitcnt lgkmcnt(0)
	v_add3_u32 v14, v14, v22, v26
	s_cbranch_scc1 .LBB6_33
.LBB6_34:                               ;   in Loop: Header=BB6_31 Depth=1
	s_and_saveexec_b64 s[6:7], s[2:3]
	s_cbranch_execz .LBB6_30
; %bb.35:                               ;   in Loop: Header=BB6_31 Depth=1
	v_lshl_add_u32 v15, v13, 2, 0
	ds_write_b32 v15, v14 offset:4
	s_branch .LBB6_30
.LBB6_36:
	s_or_b64 exec, exec, s[30:31]
	s_lshl_b32 s12, s29, 2
	s_add_i32 s13, s12, 0
	v_mov_b32_e32 v1, 0
	v_mov_b32_e32 v2, s13
	v_cmp_gt_i32_e64 s[2:3], s29, v0
	ds_write_b32 v2, v1 offset:4
	s_and_saveexec_b64 s[4:5], s[2:3]
	s_cbranch_execz .LBB6_46
; %bb.37:
	v_xad_u32 v1, v0, -1, s29
	s_movk_i32 s6, 0xff
	v_cmp_lt_u32_e32 vcc, s6, v1
	s_mov_b64 s[8:9], 0
                                        ; implicit-def: $vgpr2
	s_and_saveexec_b64 s[6:7], vcc
	s_xor_b64 s[6:7], exec, s[6:7]
	s_cbranch_execnz .LBB6_40
; %bb.38:
	s_or_saveexec_b64 s[6:7], s[6:7]
	v_mov_b32_e32 v1, s12
	s_xor_b64 exec, exec, s[6:7]
	s_cbranch_execnz .LBB6_43
.LBB6_39:
	s_or_b64 exec, exec, s[6:7]
	s_and_b64 exec, exec, s[8:9]
	s_cbranch_execnz .LBB6_44
	s_branch .LBB6_46
.LBB6_40:
	v_lshrrev_b32_e32 v1, 8, v1
	v_add_u32_e32 v6, 1, v1
	v_and_b32_e32 v7, 0x1fffffe, v6
	v_add_u32_e32 v1, 0x100, v0
	v_lshlrev_b32_e32 v2, 2, v0
	v_add3_u32 v13, s13, v2, 8
	v_mov_b32_e32 v14, s15
	v_mov_b32_e32 v3, 0
	v_mov_b32_e32 v15, v7
	v_pk_mov_b32 v[4:5], v[0:1], v[0:1] op_sel:[0,1]
.LBB6_41:                               ; =>This Inner Loop Header: Depth=1
	v_mov_b32_e32 v2, v4
	v_lshlrev_b64 v[16:17], 2, v[2:3]
	v_mov_b32_e32 v2, v5
	v_add_co_u32_e32 v16, vcc, s14, v16
	v_addc_co_u32_e32 v17, vcc, v14, v17, vcc
	v_lshlrev_b64 v[18:19], 2, v[2:3]
	v_add_co_u32_e32 v18, vcc, s14, v18
	v_addc_co_u32_e32 v19, vcc, v14, v19, vcc
	global_load_dword v1, v[16:17], off
	global_load_dword v2, v[18:19], off
	v_add_u32_e32 v15, -2, v15
	v_cmp_eq_u32_e32 vcc, 0, v15
	v_add_u32_e32 v4, 0x200, v4
	v_add_u32_e32 v5, 0x200, v5
	s_or_b64 s[8:9], vcc, s[8:9]
	s_waitcnt vmcnt(0)
	ds_write2st64_b32 v13, v1, v2 offset1:4
	v_add_u32_e32 v13, 0x800, v13
	s_andn2_b64 exec, exec, s[8:9]
	s_cbranch_execnz .LBB6_41
; %bb.42:
	s_or_b64 exec, exec, s[8:9]
	v_cmp_ne_u32_e32 vcc, v6, v7
	v_lshl_add_u32 v2, v7, 8, v0
	s_and_b64 s[8:9], vcc, exec
	s_or_saveexec_b64 s[6:7], s[6:7]
	v_mov_b32_e32 v1, s12
	s_xor_b64 exec, exec, s[6:7]
	s_cbranch_execz .LBB6_39
.LBB6_43:
	v_mov_b32_e32 v1, s12
	s_or_b64 s[8:9], s[8:9], exec
	v_mov_b32_e32 v2, v0
	s_or_b64 exec, exec, s[6:7]
	s_and_b64 exec, exec, s[8:9]
	s_cbranch_execz .LBB6_46
.LBB6_44:
	v_mov_b32_e32 v3, 0
	v_lshlrev_b64 v[4:5], 2, v[2:3]
	v_lshl_add_u32 v1, v2, 2, v1
	v_mov_b32_e32 v3, s15
	v_add_co_u32_e32 v4, vcc, s14, v4
	v_add3_u32 v1, v1, 0, 8
	v_addc_co_u32_e32 v5, vcc, v3, v5, vcc
	s_mov_b64 s[6:7], 0
.LBB6_45:                               ; =>This Inner Loop Header: Depth=1
	global_load_dword v3, v[4:5], off
	v_add_co_u32_e32 v4, vcc, 0x400, v4
	v_add_u32_e32 v2, 0x100, v2
	v_addc_co_u32_e32 v5, vcc, 0, v5, vcc
	v_cmp_le_i32_e32 vcc, s29, v2
	s_or_b64 s[6:7], vcc, s[6:7]
	s_waitcnt vmcnt(0)
	ds_write_b32 v1, v3
	v_add_u32_e32 v1, 0x400, v1
	s_andn2_b64 exec, exec, s[6:7]
	s_cbranch_execnz .LBB6_45
.LBB6_46:
	s_or_b64 exec, exec, s[4:5]
	s_add_i32 s30, s13, 4
	s_cmp_lg_u32 s48, 0
	s_waitcnt lgkmcnt(0)
	s_barrier
	s_cbranch_scc1 .LBB6_57
; %bb.47:
	s_mov_b32 s31, 0
	s_cmp_lt_i32 s29, 1
	v_mov_b32_e32 v2, 0
	s_cbranch_scc1 .LBB6_54
; %bb.48:
	v_lshlrev_b32_e32 v2, 2, v12
	v_and_b32_e32 v3, 0xc0, v2
	v_cmp_eq_u32_e32 vcc, 0, v12
	s_add_i32 s34, s37, -1
	v_add_u32_e32 v1, -4, v3
	v_cmp_lt_u32_e64 s[4:5], 15, v12
	v_add_u32_e32 v3, 0xffffffbc, v3
	v_cmp_lt_u32_e64 s[6:7], 31, v12
	v_add_u32_e32 v4, 0, v2
	s_branch .LBB6_50
.LBB6_49:                               ;   in Loop: Header=BB6_50 Depth=1
	s_or_b64 exec, exec, s[10:11]
	s_add_i32 s31, s31, 64
	s_cmp_lt_i32 s31, s29
	v_add_u32_e32 v4, 0x100, v4
	s_waitcnt lgkmcnt(0)
	s_cbranch_scc0 .LBB6_54
.LBB6_50:                               ; =>This Inner Loop Header: Depth=1
	ds_read_b32 v7, v4 offset:4
	v_mov_b32_e32 v2, s31
	v_add_u32_e32 v5, s12, v4
	ds_read_b32 v6, v5 offset:8
	v_cndmask_b32_e32 v2, 0, v2, vcc
	s_waitcnt lgkmcnt(1)
	v_add_u32_e32 v7, s34, v7
	v_lshlrev_b32_e32 v2, 2, v2
	v_mul_hi_u32 v14, v7, s38
	v_add_u32_e32 v13, 0, v2
	v_add_u32_e32 v7, v7, v14
	v_lshrrev_b32_e32 v14, s39, v7
	v_add_u32_e32 v2, s30, v2
	ds_read_b32 v13, v13
	ds_read_b32 v7, v2
	v_mul_lo_u32 v2, v14, s37
	s_waitcnt lgkmcnt(2)
	v_cmp_ne_u32_e64 s[8:9], 0, v6
	v_cndmask_b32_e64 v2, 0, v2, s[8:9]
	s_waitcnt lgkmcnt(1)
	v_add_u32_e32 v2, v2, v13
	v_add_u32_e32 v14, s31, v12
	v_cmp_gt_i32_e64 s[8:9], s29, v14
	v_add_u32_dpp v2, v2, v2 row_shr:1 row_mask:0xf bank_mask:0xf bound_ctrl:1
	s_nop 1
	v_add_u32_dpp v2, v2, v2 row_shr:2 row_mask:0xf bank_mask:0xf bound_ctrl:1
	s_nop 1
	;; [unrolled: 2-line block ×3, first 2 shown]
	v_add_u32_dpp v2, v2, v2 row_shr:8 row_mask:0xf bank_mask:0xf bound_ctrl:1
	ds_bpermute_b32 v13, v1, v2
	s_waitcnt lgkmcnt(0)
	v_cndmask_b32_e64 v13, 0, v13, s[4:5]
	v_add_u32_e32 v2, v2, v13
	ds_bpermute_b32 v13, v3, v2
	s_waitcnt lgkmcnt(0)
	v_cndmask_b32_e64 v13, 0, v13, s[6:7]
	v_add_u32_e32 v2, v2, v13
	s_and_saveexec_b64 s[10:11], s[8:9]
	s_cbranch_execz .LBB6_52
; %bb.51:                               ;   in Loop: Header=BB6_50 Depth=1
	ds_write_b32 v4, v2 offset:4
.LBB6_52:                               ;   in Loop: Header=BB6_50 Depth=1
	s_or_b64 exec, exec, s[10:11]
	v_add_u32_e32 v6, v6, v7
	s_nop 1
	v_add_u32_dpp v6, v6, v6 row_shr:1 row_mask:0xf bank_mask:0xf bound_ctrl:1
	s_nop 1
	v_add_u32_dpp v6, v6, v6 row_shr:2 row_mask:0xf bank_mask:0xf bound_ctrl:1
	;; [unrolled: 2-line block ×4, first 2 shown]
	ds_bpermute_b32 v7, v1, v6
	s_waitcnt lgkmcnt(0)
	v_cndmask_b32_e64 v7, 0, v7, s[4:5]
	v_add_u32_e32 v6, v7, v6
	ds_bpermute_b32 v7, v3, v6
	s_and_saveexec_b64 s[10:11], s[8:9]
	s_cbranch_execz .LBB6_49
; %bb.53:                               ;   in Loop: Header=BB6_50 Depth=1
	s_waitcnt lgkmcnt(0)
	v_cndmask_b32_e64 v7, 0, v7, s[6:7]
	v_add_u32_e32 v6, v7, v6
	ds_write_b32 v5, v6 offset:8
	s_branch .LBB6_49
.LBB6_54:
	v_add_u32_e32 v1, s31, v12
	v_subrev_u32_e32 v1, 63, v1
	v_cmp_eq_u32_e32 vcc, s29, v1
	s_and_saveexec_b64 s[4:5], vcc
	s_cbranch_execz .LBB6_56
; %bb.55:
	v_mov_b32_e32 v1, 0
	v_mov_b32_e32 v3, s28
	global_store_dwordx2 v1, v[2:3], s[22:23]
.LBB6_56:
	s_or_b64 exec, exec, s[4:5]
.LBB6_57:
	s_cmp_eq_u64 s[26:27], 0
	s_barrier
	s_cbranch_scc1 .LBB6_64
; %bb.58:
	s_mul_i32 s10, s40, s28
	v_cmp_gt_i32_e32 vcc, s10, v0
	s_and_saveexec_b64 s[6:7], vcc
	s_cbranch_execz .LBB6_63
; %bb.59:
	v_lshlrev_b32_e32 v1, 2, v0
	v_mov_b32_e32 v3, s45
	v_add_co_u32_e32 v2, vcc, s44, v1
	v_addc_co_u32_e32 v3, vcc, 0, v3, vcc
	v_mov_b32_e32 v5, s27
	v_add_co_u32_e32 v4, vcc, s26, v1
	v_addc_co_u32_e32 v5, vcc, 0, v5, vcc
	s_mov_b64 s[8:9], 0
	v_mov_b32_e32 v1, s15
	v_mov_b32_e32 v13, v0
	s_branch .LBB6_61
.LBB6_60:                               ;   in Loop: Header=BB6_61 Depth=1
	s_or_b64 exec, exec, s[4:5]
	v_add_co_u32_e32 v2, vcc, 0x400, v2
	v_add_u32_e32 v13, 0x100, v13
	v_addc_co_u32_e32 v3, vcc, 0, v3, vcc
	s_waitcnt lgkmcnt(0)
	global_store_dword v[4:5], v7, off
	v_add_co_u32_e32 v4, vcc, 0x400, v4
	v_cmp_le_i32_e64 s[4:5], s10, v13
	s_or_b64 s[8:9], s[4:5], s[8:9]
	v_addc_co_u32_e32 v5, vcc, 0, v5, vcc
	s_andn2_b64 exec, exec, s[8:9]
	s_cbranch_execz .LBB6_63
.LBB6_61:                               ; =>This Inner Loop Header: Depth=1
	global_load_dword v6, v[2:3], off
	s_waitcnt vmcnt(0)
	v_ashrrev_i32_e32 v7, 31, v6
	v_lshlrev_b64 v[14:15], 2, v[6:7]
	v_add_co_u32_e32 v14, vcc, s14, v14
	v_addc_co_u32_e32 v15, vcc, v1, v15, vcc
	global_load_dword v7, v[14:15], off
	s_waitcnt vmcnt(0)
	v_cmp_ne_u32_e32 vcc, 0, v7
	v_mov_b32_e32 v7, -1
	s_and_saveexec_b64 s[4:5], vcc
	s_cbranch_execz .LBB6_60
; %bb.62:                               ;   in Loop: Header=BB6_61 Depth=1
	v_lshl_add_u32 v6, v6, 2, s30
	ds_read_b32 v7, v6
	s_branch .LBB6_60
.LBB6_63:
	s_or_b64 exec, exec, s[6:7]
	s_barrier
.LBB6_64:
	s_and_saveexec_b64 s[6:7], s[2:3]
	s_cbranch_execz .LBB6_71
; %bb.65:
	s_mov_b64 s[8:9], 0
	v_mov_b32_e32 v3, 0
	v_mov_b32_e32 v4, v0
	s_branch .LBB6_67
.LBB6_66:                               ;   in Loop: Header=BB6_67 Depth=1
	s_or_b64 exec, exec, s[10:11]
	v_add_u32_e32 v4, 0x100, v4
	v_cmp_le_i32_e32 vcc, s29, v4
	s_or_b64 s[8:9], vcc, s[8:9]
	s_andn2_b64 exec, exec, s[8:9]
	s_cbranch_execz .LBB6_71
.LBB6_67:                               ; =>This Loop Header: Depth=1
                                        ;     Child Loop BB6_70 Depth 2
	s_waitcnt lgkmcnt(1)
	v_lshlrev_b32_e32 v1, 2, v4
	v_add_u32_e32 v2, 0, v1
	ds_read2_b32 v[6:7], v2 offset1:1
	v_add_u32_e32 v2, s30, v1
	ds_read_b32 v1, v2
	s_waitcnt lgkmcnt(1)
	v_cmp_ne_u32_e32 vcc, v6, v7
	ds_write_b32 v2, v6
	s_and_saveexec_b64 s[10:11], vcc
	s_cbranch_execz .LBB6_66
; %bb.68:                               ;   in Loop: Header=BB6_67 Depth=1
	v_mov_b32_e32 v5, v3
	v_lshlrev_b64 v[14:15], 2, v[4:5]
	v_mov_b32_e32 v2, s15
	v_add_co_u32_e32 v14, vcc, s14, v14
	v_addc_co_u32_e32 v15, vcc, v2, v15, vcc
	global_load_dword v2, v[14:15], off
	v_cmp_lt_i32_e64 s[4:5], v6, v7
	s_waitcnt vmcnt(0)
	v_cmp_ne_u32_e32 vcc, 0, v2
	s_and_b64 s[4:5], s[4:5], vcc
	s_and_b64 exec, exec, s[4:5]
	s_cbranch_execz .LBB6_66
; %bb.69:                               ;   in Loop: Header=BB6_67 Depth=1
	s_mov_b64 s[4:5], 0
.LBB6_70:                               ;   Parent Loop BB6_67 Depth=1
                                        ; =>  This Inner Loop Header: Depth=2
	v_mul_hi_u32 v2, s38, v6
	v_add_u32_e32 v2, v6, v2
	v_add_u32_e32 v6, s37, v6
	v_lshrrev_b32_e32 v2, s39, v2
	v_cmp_ge_i32_e32 vcc, v6, v7
	v_lshlrev_b64 v[14:15], 2, v[2:3]
	v_mov_b32_e32 v5, s21
	s_or_b64 s[4:5], vcc, s[4:5]
	v_add_co_u32_e32 v14, vcc, s20, v14
	v_addc_co_u32_e32 v15, vcc, v5, v15, vcc
	s_waitcnt lgkmcnt(1)
	global_store_dword v[14:15], v1, off
	s_andn2_b64 exec, exec, s[4:5]
	s_cbranch_execnz .LBB6_70
	s_branch .LBB6_66
.LBB6_71:
	s_or_b64 exec, exec, s[6:7]
	s_waitcnt lgkmcnt(1)
	v_mov_b32_e32 v1, s13
	s_waitcnt lgkmcnt(0)
	s_barrier
	ds_read_b32 v1, v1
	s_add_i32 s4, s13, s12
	v_mov_b32_e32 v2, s4
	s_andn2_b64 vcc, exec, s[24:25]
	s_waitcnt lgkmcnt(0)
	ds_write_b32 v2, v1 offset:4
	s_cbranch_vccnz .LBB6_85
; %bb.72:
	s_add_u32 s27, s16, -4
	s_addc_u32 s31, s17, -1
	s_add_u32 s34, s46, -4
	s_addc_u32 s35, s47, -1
	;; [unrolled: 2-line block ×3, first 2 shown]
	s_lshl_b32 s6, s29, 3
	v_and_b32_e32 v1, 8, v12
	v_add3_u32 v2, v11, s6, v10
	s_lshl_b32 s39, s29, 5
	v_cmp_gt_i32_e32 vcc, s33, v9
	s_mov_b32 s26, 0
	v_cmp_eq_u32_e64 s[4:5], 0, v1
	v_lshl_or_b32 v1, v0, 2, 28
	v_mul_lo_u32 v4, s40, v9
	s_lshl_b32 s38, s40, 3
	v_add3_u32 v5, v2, 0, 8
	s_add_i32 s39, s39, 32
	v_mov_b32_e32 v3, 0
	s_mov_b32 s41, 0x4020100
	s_branch .LBB6_74
.LBB6_73:                               ;   in Loop: Header=BB6_74 Depth=1
	s_or_b64 exec, exec, s[10:11]
	s_add_i32 s26, s26, s33
	s_cmp_ge_i32 s26, s28
	v_add_u32_e32 v4, s43, v4
	s_waitcnt lgkmcnt(0)
	s_barrier
	s_cbranch_scc1 .LBB6_85
.LBB6_74:                               ; =>This Loop Header: Depth=1
                                        ;     Child Loop BB6_79 Depth 2
                                        ;       Child Loop BB6_83 Depth 3
	s_and_saveexec_b64 s[10:11], s[0:1]
	s_cbranch_execz .LBB6_73
; %bb.75:                               ;   in Loop: Header=BB6_74 Depth=1
	s_mov_b64 s[12:13], 0
	v_mov_b32_e32 v6, v5
	v_mov_b32_e32 v2, v8
	s_branch .LBB6_79
.LBB6_76:                               ;   in Loop: Header=BB6_79 Depth=2
	s_or_b64 exec, exec, s[24:25]
.LBB6_77:                               ;   in Loop: Header=BB6_79 Depth=2
	s_or_b64 exec, exec, s[22:23]
	s_waitcnt lgkmcnt(0)
	ds_write_b32 v7, v10
.LBB6_78:                               ;   in Loop: Header=BB6_79 Depth=2
	s_or_b64 exec, exec, s[20:21]
	v_add_u32_e32 v2, 32, v2
	v_cmp_le_i32_e64 s[6:7], s29, v2
	s_or_b64 s[12:13], s[6:7], s[12:13]
	v_add_u32_e32 v6, 0x80, v6
	s_andn2_b64 exec, exec, s[12:13]
	s_cbranch_execz .LBB6_73
.LBB6_79:                               ;   Parent Loop BB6_74 Depth=1
                                        ; =>  This Loop Header: Depth=2
                                        ;       Child Loop BB6_83 Depth 3
	v_lshlrev_b64 v[10:11], 2, v[2:3]
	v_mov_b32_e32 v7, s15
	v_add_co_u32_e64 v10, s[6:7], s14, v10
	v_addc_co_u32_e64 v11, s[6:7], v7, v11, s[6:7]
	global_load_dword v7, v[10:11], off
	s_waitcnt vmcnt(0)
	v_cmp_ne_u32_e64 s[6:7], 0, v7
	s_and_saveexec_b64 s[20:21], s[6:7]
	s_cbranch_execz .LBB6_78
; %bb.80:                               ;   in Loop: Header=BB6_79 Depth=2
	v_lshl_add_u32 v7, v2, 2, 0
	ds_read_b32 v10, v7
	s_and_saveexec_b64 s[22:23], vcc
	s_cbranch_execz .LBB6_77
; %bb.81:                               ;   in Loop: Header=BB6_79 Depth=2
	s_mov_b64 s[24:25], 0
	v_mov_b32_e32 v11, v6
	v_mov_b32_e32 v12, v4
	;; [unrolled: 1-line block ×3, first 2 shown]
	s_branch .LBB6_83
.LBB6_82:                               ;   in Loop: Header=BB6_83 Depth=3
	s_or_b64 exec, exec, s[8:9]
	ds_bpermute_b32 v14, v1, v14
	v_add_u32_e32 v13, 8, v13
	v_cmp_le_i32_e64 s[6:7], s33, v13
	v_add_u32_e32 v12, s38, v12
	s_or_b64 s[24:25], s[6:7], s[24:25]
	s_waitcnt lgkmcnt(0)
	v_add_u32_e32 v10, v14, v10
	v_add_u32_e32 v11, s39, v11
	s_andn2_b64 exec, exec, s[24:25]
	s_cbranch_execz .LBB6_76
.LBB6_83:                               ;   Parent Loop BB6_74 Depth=1
                                        ;     Parent Loop BB6_79 Depth=2
                                        ; =>    This Inner Loop Header: Depth=3
	ds_read_b32 v15, v11
	s_waitcnt lgkmcnt(0)
	v_cmp_ne_u32_e64 s[6:7], 0, v15
	v_cndmask_b32_e64 v14, 0, 1, s[6:7]
	s_nop 1
	v_mov_b32_dpp v14, v14 row_shr:1 row_mask:0xf bank_mask:0xf bound_ctrl:1
	v_addc_co_u32_e64 v16, s[8:9], 0, v14, s[6:7]
	s_nop 1
	v_mov_b32_dpp v16, v16 row_shr:2 row_mask:0xf bank_mask:0xf bound_ctrl:1
	v_addc_co_u32_e64 v14, s[8:9], v16, v14, s[6:7]
	s_nop 1
	v_add_u32_dpp v14, v14, v14 row_shr:4 row_mask:0xf bank_mask:0xf bound_ctrl:1
	s_nop 1
	v_add_u32_dpp v14, v14, v14 row_shr:8 row_mask:0xf bank_mask:0xf bound_ctrl:1
	s_nop 1
	v_mov_b32_dpp v16, v14 row_newbcast:7 row_mask:0xf bank_mask:0xf bound_ctrl:1
	v_cndmask_b32_e64 v16, v16, 0, s[4:5]
	v_sub_u32_e32 v14, v14, v16
	s_and_saveexec_b64 s[8:9], s[6:7]
	s_cbranch_execz .LBB6_82
; %bb.84:                               ;   in Loop: Header=BB6_83 Depth=3
	v_add_u32_e32 v16, v12, v15
	v_ashrrev_i32_e32 v17, 31, v16
	v_lshlrev_b64 v[16:17], 2, v[16:17]
	v_mov_b32_e32 v18, s35
	v_add_co_u32_e64 v16, s[6:7], s34, v16
	v_addc_co_u32_e64 v17, s[6:7], v18, v17, s[6:7]
	global_load_dword v20, v[16:17], off
	v_add_u32_e32 v16, s26, v13
	v_perm_b32 v15, v15, v16, s41
	v_add_u32_e32 v16, v14, v10
	v_ashrrev_i32_e32 v17, 31, v16
	v_lshlrev_b64 v[16:17], 2, v[16:17]
	v_mov_b32_e32 v19, s31
	v_add_co_u32_e64 v18, s[6:7], s27, v16
	v_add_u32_e32 v15, 0xff000000, v15
	v_addc_co_u32_e64 v19, s[6:7], v19, v17, s[6:7]
	global_store_dword v[18:19], v15, off
	v_mov_b32_e32 v15, s37
	v_add_co_u32_e64 v16, s[6:7], s36, v16
	v_addc_co_u32_e64 v17, s[6:7], v15, v17, s[6:7]
	s_waitcnt vmcnt(1)
	global_store_dword v[16:17], v20, off
	s_branch .LBB6_82
.LBB6_85:
	s_and_saveexec_b64 s[0:1], s[2:3]
	s_cbranch_execz .LBB6_96
; %bb.86:
	s_and_b32 s0, s28, 0xffffff
	s_lshl_b32 s1, s40, 24
	s_or_b32 s4, s1, s0
	s_mov_b32 s5, s4
	s_add_i32 s30, s30, 4
	s_mov_b64 s[2:3], 0
	s_mov_b32 s8, 0
	v_mov_b32_e32 v1, 0
	s_branch .LBB6_88
.LBB6_87:                               ;   in Loop: Header=BB6_88 Depth=1
	s_or_b64 exec, exec, s[12:13]
	v_add_u32_e32 v0, 0x100, v0
	v_cmp_le_i32_e32 vcc, s29, v0
	s_or_b64 s[2:3], vcc, s[2:3]
	s_andn2_b64 exec, exec, s[2:3]
	s_cbranch_execz .LBB6_96
.LBB6_88:                               ; =>This Loop Header: Depth=1
                                        ;     Child Loop BB6_91 Depth 2
                                        ;     Child Loop BB6_95 Depth 2
	v_lshlrev_b32_e32 v2, 2, v0
	v_add_u32_e32 v3, 0, v2
	v_add_u32_e32 v4, s30, v2
	ds_read_b32 v2, v3
	ds_read_b32 v8, v4
	s_waitcnt lgkmcnt(0)
	v_cmp_gt_i32_e32 vcc, v8, v2
	s_and_saveexec_b64 s[12:13], vcc
	s_cbranch_execz .LBB6_87
; %bb.89:                               ;   in Loop: Header=BB6_88 Depth=1
	v_sub_u32_e32 v3, v8, v2
	v_cmp_lt_u32_e32 vcc, 15, v3
	s_mov_b64 s[6:7], -1
	s_and_saveexec_b64 s[0:1], vcc
	s_cbranch_execz .LBB6_93
; %bb.90:                               ;   in Loop: Header=BB6_88 Depth=1
	v_and_b32_e32 v6, -16, v3
	s_mov_b64 s[14:15], 0
	v_mov_b32_e32 v4, v2
	v_mov_b32_e32 v7, v6
.LBB6_91:                               ;   Parent Loop BB6_88 Depth=1
                                        ; =>  This Inner Loop Header: Depth=2
	v_ashrrev_i32_e32 v5, 31, v4
	v_lshlrev_b64 v[14:15], 2, v[4:5]
	v_mov_b32_e32 v5, s17
	v_add_co_u32_e32 v16, vcc, s16, v14
	v_addc_co_u32_e32 v17, vcc, v5, v15, vcc
	s_mov_b32 s6, s4
	s_mov_b32 s7, s5
	v_pk_mov_b32 v[12:13], s[6:7], s[6:7] op_sel:[0,1]
	v_mov_b32_e32 v5, s19
	v_add_co_u32_e32 v14, vcc, s18, v14
	v_pk_mov_b32 v[10:11], s[4:5], s[4:5] op_sel:[0,1]
	v_addc_co_u32_e32 v15, vcc, v5, v15, vcc
	s_mov_b32 s10, s8
	s_mov_b32 s11, s8
	v_add_u32_e32 v7, -16, v7
	global_store_dwordx4 v[16:17], v[10:13], off
	global_store_dwordx4 v[16:17], v[10:13], off offset:16
	global_store_dwordx4 v[16:17], v[10:13], off offset:32
	;; [unrolled: 1-line block ×3, first 2 shown]
	s_mov_b32 s9, s8
	v_pk_mov_b32 v[12:13], s[10:11], s[10:11] op_sel:[0,1]
	v_cmp_eq_u32_e32 vcc, 0, v7
	v_pk_mov_b32 v[10:11], s[8:9], s[8:9] op_sel:[0,1]
	s_or_b64 s[14:15], vcc, s[14:15]
	v_add_u32_e32 v4, 16, v4
	global_store_dwordx4 v[14:15], v[10:13], off
	global_store_dwordx4 v[14:15], v[10:13], off offset:16
	global_store_dwordx4 v[14:15], v[10:13], off offset:32
	;; [unrolled: 1-line block ×3, first 2 shown]
	s_andn2_b64 exec, exec, s[14:15]
	s_cbranch_execnz .LBB6_91
; %bb.92:                               ;   in Loop: Header=BB6_88 Depth=1
	s_or_b64 exec, exec, s[14:15]
	v_cmp_ne_u32_e32 vcc, v3, v6
	v_add_u32_e32 v2, v2, v6
	s_orn2_b64 s[6:7], vcc, exec
.LBB6_93:                               ;   in Loop: Header=BB6_88 Depth=1
	s_or_b64 exec, exec, s[0:1]
	s_and_b64 exec, exec, s[6:7]
	s_cbranch_execz .LBB6_87
; %bb.94:                               ;   in Loop: Header=BB6_88 Depth=1
	v_ashrrev_i32_e32 v3, 31, v2
	v_lshlrev_b64 v[6:7], 2, v[2:3]
	v_mov_b32_e32 v3, s17
	v_add_co_u32_e32 v4, vcc, s16, v6
	v_addc_co_u32_e32 v5, vcc, v3, v7, vcc
	v_mov_b32_e32 v3, s19
	v_add_co_u32_e32 v6, vcc, s18, v6
	v_addc_co_u32_e32 v7, vcc, v3, v7, vcc
	s_mov_b64 s[6:7], 0
.LBB6_95:                               ;   Parent Loop BB6_88 Depth=1
                                        ; =>  This Inner Loop Header: Depth=2
	global_store_dword v[6:7], v1, off
	v_add_co_u32_e32 v6, vcc, 4, v6
	v_mov_b32_e32 v3, s4
	v_add_u32_e32 v2, 1, v2
	v_addc_co_u32_e32 v7, vcc, 0, v7, vcc
	global_store_dword v[4:5], v3, off
	v_cmp_ge_i32_e32 vcc, v2, v8
	v_add_co_u32_e64 v4, s[0:1], 4, v4
	s_or_b64 s[6:7], vcc, s[6:7]
	v_addc_co_u32_e64 v5, vcc, 0, v5, s[0:1]
	s_andn2_b64 exec, exec, s[6:7]
	s_cbranch_execnz .LBB6_95
	s_branch .LBB6_87
.LBB6_96:
	s_endpgm
	.section	.rodata,"a",@progbits
	.p2align	6, 0x0
	.amdhsa_kernel _ZN5aiter22opus_moe_sorting_entryINS_16MoeSortingKernelINS_19MoeSortingProblemExIifLi4ELb1ELb1ELb0ELb1ELi0EEEEENS4_5KargsEEEvT0_
		.amdhsa_group_segment_fixed_size 0
		.amdhsa_private_segment_fixed_size 0
		.amdhsa_kernarg_size 400
		.amdhsa_user_sgpr_count 6
		.amdhsa_user_sgpr_private_segment_buffer 1
		.amdhsa_user_sgpr_dispatch_ptr 0
		.amdhsa_user_sgpr_queue_ptr 0
		.amdhsa_user_sgpr_kernarg_segment_ptr 1
		.amdhsa_user_sgpr_dispatch_id 0
		.amdhsa_user_sgpr_flat_scratch_init 0
		.amdhsa_user_sgpr_kernarg_preload_length 0
		.amdhsa_user_sgpr_kernarg_preload_offset 0
		.amdhsa_user_sgpr_private_segment_size 0
		.amdhsa_uses_dynamic_stack 0
		.amdhsa_system_sgpr_private_segment_wavefront_offset 0
		.amdhsa_system_sgpr_workgroup_id_x 1
		.amdhsa_system_sgpr_workgroup_id_y 0
		.amdhsa_system_sgpr_workgroup_id_z 0
		.amdhsa_system_sgpr_workgroup_info 0
		.amdhsa_system_vgpr_workitem_id 0
		.amdhsa_next_free_vgpr 27
		.amdhsa_next_free_sgpr 49
		.amdhsa_accum_offset 28
		.amdhsa_reserve_vcc 1
		.amdhsa_reserve_flat_scratch 0
		.amdhsa_float_round_mode_32 0
		.amdhsa_float_round_mode_16_64 0
		.amdhsa_float_denorm_mode_32 3
		.amdhsa_float_denorm_mode_16_64 3
		.amdhsa_dx10_clamp 1
		.amdhsa_ieee_mode 1
		.amdhsa_fp16_overflow 0
		.amdhsa_tg_split 0
		.amdhsa_exception_fp_ieee_invalid_op 0
		.amdhsa_exception_fp_denorm_src 0
		.amdhsa_exception_fp_ieee_div_zero 0
		.amdhsa_exception_fp_ieee_overflow 0
		.amdhsa_exception_fp_ieee_underflow 0
		.amdhsa_exception_fp_ieee_inexact 0
		.amdhsa_exception_int_div_zero 0
	.end_amdhsa_kernel
	.section	.text._ZN5aiter22opus_moe_sorting_entryINS_16MoeSortingKernelINS_19MoeSortingProblemExIifLi4ELb1ELb1ELb0ELb1ELi0EEEEENS4_5KargsEEEvT0_,"axG",@progbits,_ZN5aiter22opus_moe_sorting_entryINS_16MoeSortingKernelINS_19MoeSortingProblemExIifLi4ELb1ELb1ELb0ELb1ELi0EEEEENS4_5KargsEEEvT0_,comdat
.Lfunc_end6:
	.size	_ZN5aiter22opus_moe_sorting_entryINS_16MoeSortingKernelINS_19MoeSortingProblemExIifLi4ELb1ELb1ELb0ELb1ELi0EEEEENS4_5KargsEEEvT0_, .Lfunc_end6-_ZN5aiter22opus_moe_sorting_entryINS_16MoeSortingKernelINS_19MoeSortingProblemExIifLi4ELb1ELb1ELb0ELb1ELi0EEEEENS4_5KargsEEEvT0_
                                        ; -- End function
	.section	.AMDGPU.csdata,"",@progbits
; Kernel info:
; codeLenInByte = 4440
; NumSgprs: 53
; NumVgprs: 27
; NumAgprs: 0
; TotalNumVgprs: 27
; ScratchSize: 0
; MemoryBound: 0
; FloatMode: 240
; IeeeMode: 1
; LDSByteSize: 0 bytes/workgroup (compile time only)
; SGPRBlocks: 6
; VGPRBlocks: 3
; NumSGPRsForWavesPerEU: 53
; NumVGPRsForWavesPerEU: 27
; AccumOffset: 28
; Occupancy: 8
; WaveLimiterHint : 1
; COMPUTE_PGM_RSRC2:SCRATCH_EN: 0
; COMPUTE_PGM_RSRC2:USER_SGPR: 6
; COMPUTE_PGM_RSRC2:TRAP_HANDLER: 0
; COMPUTE_PGM_RSRC2:TGID_X_EN: 1
; COMPUTE_PGM_RSRC2:TGID_Y_EN: 0
; COMPUTE_PGM_RSRC2:TGID_Z_EN: 0
; COMPUTE_PGM_RSRC2:TIDIG_COMP_CNT: 0
; COMPUTE_PGM_RSRC3_GFX90A:ACCUM_OFFSET: 6
; COMPUTE_PGM_RSRC3_GFX90A:TG_SPLIT: 0
	.section	.text._ZN5aiter22opus_moe_sorting_entryINS_16MoeSortingKernelINS_19MoeSortingProblemExIifLi2ELb1ELb1ELb0ELb1ELi0EEEEENS4_5KargsEEEvT0_,"axG",@progbits,_ZN5aiter22opus_moe_sorting_entryINS_16MoeSortingKernelINS_19MoeSortingProblemExIifLi2ELb1ELb1ELb0ELb1ELi0EEEEENS4_5KargsEEEvT0_,comdat
	.protected	_ZN5aiter22opus_moe_sorting_entryINS_16MoeSortingKernelINS_19MoeSortingProblemExIifLi2ELb1ELb1ELb0ELb1ELi0EEEEENS4_5KargsEEEvT0_ ; -- Begin function _ZN5aiter22opus_moe_sorting_entryINS_16MoeSortingKernelINS_19MoeSortingProblemExIifLi2ELb1ELb1ELb0ELb1ELi0EEEEENS4_5KargsEEEvT0_
	.globl	_ZN5aiter22opus_moe_sorting_entryINS_16MoeSortingKernelINS_19MoeSortingProblemExIifLi2ELb1ELb1ELb0ELb1ELi0EEEEENS4_5KargsEEEvT0_
	.p2align	8
	.type	_ZN5aiter22opus_moe_sorting_entryINS_16MoeSortingKernelINS_19MoeSortingProblemExIifLi2ELb1ELb1ELb0ELb1ELi0EEEEENS4_5KargsEEEvT0_,@function
_ZN5aiter22opus_moe_sorting_entryINS_16MoeSortingKernelINS_19MoeSortingProblemExIifLi2ELb1ELb1ELb0ELb1ELi0EEEEENS4_5KargsEEEvT0_: ; @_ZN5aiter22opus_moe_sorting_entryINS_16MoeSortingKernelINS_19MoeSortingProblemExIifLi2ELb1ELb1ELb0ELb1ELi0EEEEENS4_5KargsEEEvT0_
; %bb.0:
	s_load_dwordx8 s[12:19], s[4:5], 0x20
	s_load_dwordx8 s[20:27], s[4:5], 0x40
	s_cmp_eq_u32 s6, 0
	s_cbranch_scc1 .LBB7_7
; %bb.1:
	s_waitcnt lgkmcnt(0)
	s_cmp_eq_u64 s[20:21], 0
	s_mov_b64 s[2:3], 0
	s_cbranch_scc1 .LBB7_6
; %bb.2:
	s_mul_i32 s1, s26, s24
	s_ashr_i32 s7, s27, 31
	s_mul_hi_i32 s0, s26, s24
	s_mul_i32 s7, s1, s7
	s_mul_hi_u32 s8, s1, s27
	s_add_i32 s7, s8, s7
	s_mul_i32 s0, s0, s27
	s_add_i32 s8, s7, s0
	s_ashr_i32 s0, s8, 31
	s_mul_i32 s1, s1, s27
	s_lshr_b32 s0, s0, 28
	s_add_u32 s0, s1, s0
	s_addc_u32 s1, s8, 0
	v_lshl_add_u32 v1, s6, 8, v0
	s_ashr_i64 s[8:9], s[0:1], 4
	v_add_u32_e32 v2, 0xffffff00, v1
	v_mov_b32_e32 v3, 0
	s_mov_b32 s7, 0
	v_cmp_gt_i64_e32 vcc, s[8:9], v[2:3]
	s_and_saveexec_b64 s[10:11], vcc
	s_cbranch_execz .LBB7_5
; %bb.3:
	s_load_dword s0, s[4:5], 0x90
	v_lshlrev_b64 v[4:5], 4, v[2:3]
	v_mov_b32_e32 v1, s21
	v_add_co_u32_e32 v8, vcc, s20, v4
	s_waitcnt lgkmcnt(0)
	s_lshl_b32 s0, s0, 8
	s_add_i32 s6, s0, 0xffffff00
	s_lshl_b64 s[20:21], s[6:7], 4
	v_pk_mov_b32 v[6:7], v[2:3], v[2:3] op_sel:[0,1]
	v_addc_co_u32_e32 v9, vcc, v1, v5, vcc
	s_mov_b64 s[26:27], 0
	v_mov_b32_e32 v2, v3
	v_mov_b32_e32 v4, v3
	;; [unrolled: 1-line block ×5, first 2 shown]
.LBB7_4:                                ; =>This Inner Loop Header: Depth=1
	v_add_co_u32_e32 v6, vcc, s6, v6
	v_addc_co_u32_e32 v7, vcc, v7, v1, vcc
	global_store_dwordx4 v[8:9], v[2:5], off
	v_add_co_u32_e32 v8, vcc, s20, v8
	v_cmp_le_i64_e64 s[0:1], s[8:9], v[6:7]
	s_or_b64 s[26:27], s[0:1], s[26:27]
	v_addc_co_u32_e32 v9, vcc, v9, v10, vcc
	s_andn2_b64 exec, exec, s[26:27]
	s_cbranch_execnz .LBB7_4
.LBB7_5:
	s_or_b64 exec, exec, s[10:11]
.LBB7_6:
	s_andn2_b64 vcc, exec, s[2:3]
	s_cbranch_vccz .LBB7_8
	s_branch .LBB7_96
.LBB7_7:
.LBB7_8:
	s_load_dwordx8 s[36:43], s[4:5], 0x64
	s_load_dwordx4 s[28:31], s[4:5], 0x0
	s_load_dwordx2 s[10:11], s[4:5], 0x10
	s_load_dwordx2 s[0:1], s[4:5], 0x84
	v_lshrrev_b32_e32 v1, 6, v0
	s_waitcnt lgkmcnt(0)
	s_add_i32 s33, s36, -2
	s_mul_i32 s20, s33, s25
	v_readfirstlane_b32 s44, v1
	s_add_i32 s34, s25, 1
	v_cmp_gt_i32_e32 vcc, s20, v0
	s_and_saveexec_b64 s[2:3], vcc
	s_cbranch_execz .LBB7_18
; %bb.9:
	v_xad_u32 v2, v0, -1, s20
	s_movk_i32 s6, 0xff
	s_mov_b32 s5, 0
	s_mov_b32 s4, s0
	s_sub_i32 s0, s34, s43
	v_cmp_lt_u32_e32 vcc, s6, v2
	s_mov_b64 s[8:9], 0
                                        ; implicit-def: $vgpr1
                                        ; implicit-def: $sgpr21
	s_and_saveexec_b64 s[6:7], vcc
	s_xor_b64 s[6:7], exec, s[6:7]
	s_cbranch_execnz .LBB7_12
; %bb.10:
	s_or_saveexec_b64 s[6:7], s[6:7]
	v_mov_b32_e32 v2, s21
	s_xor_b64 exec, exec, s[6:7]
	s_cbranch_execnz .LBB7_15
.LBB7_11:
	s_or_b64 exec, exec, s[6:7]
	s_and_b64 exec, exec, s[8:9]
	s_cbranch_execnz .LBB7_16
	s_branch .LBB7_18
.LBB7_12:
	v_lshrrev_b32_e32 v1, 8, v2
	v_add_u32_e32 v4, 1, v1
	s_lshl_b32 s21, s25, 3
	v_and_b32_e32 v5, 0x1fffffe, v4
	v_add_u32_e32 v1, 0x100, v0
	s_add_i32 s8, s21, 0
	s_mov_b32 s26, s4
	s_mov_b32 s27, s1
	;; [unrolled: 1-line block ×3, first 2 shown]
	v_lshl_add_u32 v6, v0, 2, s8
	s_mov_b64 s[8:9], 0
	v_mov_b32_e32 v7, 0
	v_mov_b32_e32 v8, v5
	v_pk_mov_b32 v[2:3], v[0:1], v[0:1] op_sel:[0,1]
.LBB7_13:                               ; =>This Inner Loop Header: Depth=1
	v_mul_hi_u32 v1, s4, v2
	v_mul_hi_u32 v9, s26, v3
	v_add_u32_e32 v9, v3, v9
	v_add_u32_e32 v1, v2, v1
	v_add_u32_e32 v8, -2, v8
	v_lshrrev_b32_e32 v1, s27, v1
	v_lshrrev_b32_e32 v9, s1, v9
	v_cmp_eq_u32_e32 vcc, 0, v8
	v_mul_lo_u32 v9, v9, s35
	v_mul_lo_u32 v1, v1, s0
	v_add_u32_e32 v3, 0x200, v3
	v_add_u32_e32 v2, 0x200, v2
	s_or_b64 s[8:9], vcc, s[8:9]
	v_lshl_add_u32 v1, v1, 2, v6
	v_lshl_add_u32 v9, v9, 2, v6
	v_add_u32_e32 v6, 0x800, v6
	ds_write_b32 v1, v7 offset:8
	ds_write_b32 v9, v7 offset:1032
	s_andn2_b64 exec, exec, s[8:9]
	s_cbranch_execnz .LBB7_13
; %bb.14:
	s_or_b64 exec, exec, s[8:9]
	v_cmp_ne_u32_e32 vcc, v4, v5
	v_lshl_add_u32 v1, v5, 8, v0
	s_and_b64 s[8:9], vcc, exec
	s_or_saveexec_b64 s[6:7], s[6:7]
	v_mov_b32_e32 v2, s21
	s_xor_b64 exec, exec, s[6:7]
	s_cbranch_execz .LBB7_11
.LBB7_15:
	s_lshl_b32 s21, s25, 3
	v_mov_b32_e32 v2, s21
	s_or_b64 s[8:9], s[8:9], exec
	v_mov_b32_e32 v1, v0
	s_or_b64 exec, exec, s[6:7]
	s_and_b64 exec, exec, s[8:9]
	s_cbranch_execz .LBB7_18
.LBB7_16:
	v_lshl_add_u32 v2, v1, 2, v2
	v_mad_u64_u32 v[4:5], s[6:7], v1, s4, 0
	s_lshl_b64 s[4:5], s[4:5], 8
	s_lshl_b32 s0, s0, 2
	v_add3_u32 v2, v2, 0, 8
	s_mov_b64 s[6:7], 0
	v_mov_b32_e32 v3, 0
	v_mov_b32_e32 v6, s5
.LBB7_17:                               ; =>This Inner Loop Header: Depth=1
	v_add_co_u32_e32 v4, vcc, s4, v4
	v_add_u32_e32 v7, v1, v5
	v_add_u32_e32 v1, 0x100, v1
	v_addc_co_u32_e32 v5, vcc, v5, v6, vcc
	v_lshrrev_b32_e32 v7, s1, v7
	v_cmp_le_i32_e32 vcc, s20, v1
	v_mad_u64_u32 v[8:9], s[8:9], s0, v7, v[2:3]
	v_add_u32_e32 v2, 0x400, v2
	s_or_b64 s[6:7], vcc, s[6:7]
	ds_write_b32 v8, v3
	s_andn2_b64 exec, exec, s[6:7]
	s_cbranch_execnz .LBB7_17
.LBB7_18:
	s_or_b64 exec, exec, s[2:3]
	s_cmp_gt_i32 s24, 0
	s_mov_b32 s3, 0
	s_cselect_b64 s[20:21], -1, 0
	s_cmp_lt_i32 s24, 1
	s_mul_i32 s43, s40, s33
	s_waitcnt lgkmcnt(0)
	s_barrier
	s_cbranch_scc1 .LBB7_26
; %bb.19:
	s_lshl_b32 s0, s34, 3
	s_mov_b32 s2, s41
	s_add_i32 s35, s0, 0
	v_cmp_gt_i32_e32 vcc, s43, v0
	s_sub_i32 s45, 0, s40
	v_mad_u64_u32 v[2:3], s[0:1], v0, s41, 0
	s_lshl_b64 s[4:5], s[2:3], 8
	v_mov_b32_e32 v5, 0
	s_mov_b32 s2, 0
	s_branch .LBB7_21
.LBB7_20:                               ;   in Loop: Header=BB7_21 Depth=1
	s_or_b64 exec, exec, s[6:7]
	s_add_i32 s2, s2, s33
	s_add_i32 s3, s3, s43
	s_cmp_ge_i32 s2, s24
	s_barrier
	s_cbranch_scc1 .LBB7_26
.LBB7_21:                               ; =>This Loop Header: Depth=1
                                        ;     Child Loop BB7_24 Depth 2
	s_and_saveexec_b64 s[6:7], vcc
	s_cbranch_execz .LBB7_20
; %bb.22:                               ;   in Loop: Header=BB7_21 Depth=1
	s_mov_b64 s[8:9], 0
	v_pk_mov_b32 v[6:7], v[2:3], v[2:3] op_sel:[0,1]
	v_mov_b32_e32 v1, v0
	s_branch .LBB7_24
.LBB7_23:                               ;   in Loop: Header=BB7_24 Depth=2
	s_or_b64 exec, exec, s[26:27]
	v_add_u32_e32 v1, 0x100, v1
	v_cmp_le_i32_e64 s[0:1], s43, v1
	v_mov_b32_e32 v4, s5
	s_or_b64 s[8:9], s[0:1], s[8:9]
	v_add_co_u32_e64 v6, s[0:1], s4, v6
	v_addc_co_u32_e64 v7, s[0:1], v7, v4, s[0:1]
	s_waitcnt lgkmcnt(0)
	s_andn2_b64 exec, exec, s[8:9]
	s_cbranch_execz .LBB7_20
.LBB7_24:                               ;   Parent Loop BB7_21 Depth=1
                                        ; =>  This Inner Loop Header: Depth=2
	v_add_u32_e32 v4, v1, v7
	v_lshrrev_b32_e32 v8, s42, v4
	v_add_u32_e32 v4, s2, v8
	v_cmp_gt_i32_e64 s[0:1], s24, v4
	s_and_saveexec_b64 s[26:27], s[0:1]
	s_cbranch_execz .LBB7_23
; %bb.25:                               ;   in Loop: Header=BB7_24 Depth=2
	v_add_u32_e32 v4, s3, v1
	v_lshlrev_b64 v[10:11], 2, v[4:5]
	v_mov_b32_e32 v4, s29
	v_add_co_u32_e64 v10, s[0:1], s28, v10
	v_addc_co_u32_e64 v11, s[0:1], v4, v11, s[0:1]
	global_load_dword v4, v[10:11], off
	v_mul_lo_u32 v9, s45, v8
	v_mul_lo_u32 v8, v8, s34
	v_lshlrev_b32_e32 v8, 2, v8
	v_add3_u32 v9, v1, v9, 1
	s_waitcnt vmcnt(0)
	v_lshlrev_b32_e32 v4, 2, v4
	v_add3_u32 v4, s35, v4, v8
	ds_write_b32 v4, v9
	s_branch .LBB7_23
.LBB7_26:
	v_cmp_eq_u32_e32 vcc, 0, v0
	s_and_saveexec_b64 s[0:1], vcc
	s_cbranch_execz .LBB7_28
; %bb.27:
	v_mov_b32_e32 v1, 0
	ds_write_b32 v1, v1
.LBB7_28:
	s_or_b64 exec, exec, s[0:1]
	v_mbcnt_lo_u32_b32 v1, -1, 0
	v_and_b32_e32 v9, 7, v0
	v_mbcnt_hi_u32_b32 v12, -1, v1
	v_lshrrev_b32_e32 v8, 3, v0
	v_mul_lo_u32 v1, s34, v9
	v_cmp_gt_i32_e64 s[0:1], s25, v8
	v_lshlrev_b32_e32 v10, 2, v1
	v_lshlrev_b32_e32 v11, 2, v8
	s_and_saveexec_b64 s[26:27], s[0:1]
	s_cbranch_execz .LBB7_36
; %bb.29:
	s_cmp_gt_i32 s36, 2
	s_mul_i32 s4, s25, 40
	v_add3_u32 v4, v10, s4, v11
	s_cselect_b64 s[4:5], -1, 0
	s_lshl_b32 s6, s25, 3
	v_lshlrev_b32_e32 v3, 2, v12
	s_lshl_b32 s36, s25, 6
	v_add3_u32 v5, v10, s6, v11
	v_cndmask_b32_e64 v6, 0, 1, s[4:5]
	v_xor_b32_e32 v1, 4, v3
	v_xor_b32_e32 v2, 8, v3
	;; [unrolled: 1-line block ×3, first 2 shown]
	v_cmp_eq_u32_e64 s[2:3], 0, v9
	v_add3_u32 v4, v4, 0, 40
	s_add_i32 s36, s36, 64
	v_add3_u32 v5, v5, 0, 8
	s_mov_b64 s[34:35], 0
	v_cmp_ne_u32_e64 s[4:5], 1, v6
	v_mov_b32_e32 v6, v8
	s_branch .LBB7_31
.LBB7_30:                               ;   in Loop: Header=BB7_31 Depth=1
	s_or_b64 exec, exec, s[6:7]
	v_add_u32_e32 v6, 32, v6
	v_cmp_le_i32_e32 vcc, s25, v6
	v_add_u32_e32 v4, 0x80, v4
	s_or_b64 s[34:35], vcc, s[34:35]
	v_add_u32_e32 v5, 0x80, v5
	s_andn2_b64 exec, exec, s[34:35]
	s_cbranch_execz .LBB7_36
.LBB7_31:                               ; =>This Loop Header: Depth=1
                                        ;     Child Loop BB7_33 Depth 2
	s_and_b64 vcc, exec, s[4:5]
	v_mov_b32_e32 v7, 0
	s_cbranch_vccnz .LBB7_34
; %bb.32:                               ;   in Loop: Header=BB7_31 Depth=1
	s_mov_b32 s41, 0
	v_mov_b32_e32 v7, 0
	s_mov_b32 s42, 0
.LBB7_33:                               ;   Parent Loop BB7_31 Depth=1
                                        ; =>  This Inner Loop Header: Depth=2
	v_add_u32_e32 v13, s41, v5
	v_add_u32_e32 v14, s41, v4
	ds_read_b32 v13, v13
	ds_read_b32 v14, v14
	s_add_i32 s42, s42, 16
	s_add_i32 s41, s41, s36
	s_cmp_lt_i32 s42, s33
	s_waitcnt lgkmcnt(1)
	v_cmp_ne_u32_e32 vcc, 0, v13
	v_cndmask_b32_e64 v13, 0, 1, vcc
	s_waitcnt lgkmcnt(0)
	v_cmp_ne_u32_e64 s[6:7], 0, v14
	v_cndmask_b32_e64 v14, 0, 1, s[6:7]
	ds_bpermute_b32 v13, v1, v13
	ds_bpermute_b32 v14, v1, v14
	s_waitcnt lgkmcnt(1)
	v_addc_co_u32_e64 v15, s[8:9], 0, v13, vcc
	s_waitcnt lgkmcnt(0)
	v_addc_co_u32_e64 v16, s[8:9], 0, v14, s[6:7]
	ds_bpermute_b32 v15, v2, v15
	ds_bpermute_b32 v16, v2, v16
	s_waitcnt lgkmcnt(1)
	v_addc_co_u32_e32 v13, vcc, v15, v13, vcc
	s_waitcnt lgkmcnt(0)
	v_addc_co_u32_e64 v14, vcc, v16, v14, s[6:7]
	ds_bpermute_b32 v15, v3, v13
	ds_bpermute_b32 v16, v3, v14
	s_waitcnt lgkmcnt(1)
	v_add3_u32 v7, v13, v7, v15
	s_waitcnt lgkmcnt(0)
	v_add3_u32 v7, v7, v14, v16
	s_cbranch_scc1 .LBB7_33
.LBB7_34:                               ;   in Loop: Header=BB7_31 Depth=1
	s_and_saveexec_b64 s[6:7], s[2:3]
	s_cbranch_execz .LBB7_30
; %bb.35:                               ;   in Loop: Header=BB7_31 Depth=1
	v_lshl_add_u32 v13, v6, 2, 0
	ds_write_b32 v13, v7 offset:4
	s_branch .LBB7_30
.LBB7_36:
	s_or_b64 exec, exec, s[26:27]
	s_lshl_b32 s35, s25, 2
	s_add_i32 s36, s35, 0
	v_mov_b32_e32 v1, 0
	v_mov_b32_e32 v2, s36
	v_cmp_gt_i32_e64 s[2:3], s25, v0
	ds_write_b32 v2, v1 offset:4
	s_and_saveexec_b64 s[4:5], s[2:3]
	s_cbranch_execz .LBB7_46
; %bb.37:
	v_xad_u32 v1, v0, -1, s25
	s_movk_i32 s6, 0xff
	v_cmp_lt_u32_e32 vcc, s6, v1
	s_mov_b64 s[8:9], 0
                                        ; implicit-def: $vgpr2
	s_and_saveexec_b64 s[6:7], vcc
	s_xor_b64 s[6:7], exec, s[6:7]
	s_cbranch_execnz .LBB7_40
; %bb.38:
	s_or_saveexec_b64 s[6:7], s[6:7]
	v_mov_b32_e32 v1, s35
	s_xor_b64 exec, exec, s[6:7]
	s_cbranch_execnz .LBB7_43
.LBB7_39:
	s_or_b64 exec, exec, s[6:7]
	s_and_b64 exec, exec, s[8:9]
	s_cbranch_execnz .LBB7_44
	s_branch .LBB7_46
.LBB7_40:
	v_lshrrev_b32_e32 v1, 8, v1
	v_add_u32_e32 v6, 1, v1
	v_and_b32_e32 v7, 0x1fffffe, v6
	v_add_u32_e32 v1, 0x100, v0
	v_lshlrev_b32_e32 v2, 2, v0
	v_add3_u32 v13, s36, v2, 8
	v_mov_b32_e32 v14, s11
	v_mov_b32_e32 v3, 0
	;; [unrolled: 1-line block ×3, first 2 shown]
	v_pk_mov_b32 v[4:5], v[0:1], v[0:1] op_sel:[0,1]
.LBB7_41:                               ; =>This Inner Loop Header: Depth=1
	v_mov_b32_e32 v2, v4
	v_lshlrev_b64 v[16:17], 2, v[2:3]
	v_mov_b32_e32 v2, v5
	v_add_co_u32_e32 v16, vcc, s10, v16
	v_addc_co_u32_e32 v17, vcc, v14, v17, vcc
	v_lshlrev_b64 v[18:19], 2, v[2:3]
	v_add_co_u32_e32 v18, vcc, s10, v18
	v_addc_co_u32_e32 v19, vcc, v14, v19, vcc
	global_load_dword v1, v[16:17], off
	global_load_dword v2, v[18:19], off
	v_add_u32_e32 v15, -2, v15
	v_cmp_eq_u32_e32 vcc, 0, v15
	v_add_u32_e32 v4, 0x200, v4
	v_add_u32_e32 v5, 0x200, v5
	s_or_b64 s[8:9], vcc, s[8:9]
	s_waitcnt vmcnt(0)
	ds_write2st64_b32 v13, v1, v2 offset1:4
	v_add_u32_e32 v13, 0x800, v13
	s_andn2_b64 exec, exec, s[8:9]
	s_cbranch_execnz .LBB7_41
; %bb.42:
	s_or_b64 exec, exec, s[8:9]
	v_cmp_ne_u32_e32 vcc, v6, v7
	v_lshl_add_u32 v2, v7, 8, v0
	s_and_b64 s[8:9], vcc, exec
	s_or_saveexec_b64 s[6:7], s[6:7]
	v_mov_b32_e32 v1, s35
	s_xor_b64 exec, exec, s[6:7]
	s_cbranch_execz .LBB7_39
.LBB7_43:
	v_mov_b32_e32 v1, s35
	s_or_b64 s[8:9], s[8:9], exec
	v_mov_b32_e32 v2, v0
	s_or_b64 exec, exec, s[6:7]
	s_and_b64 exec, exec, s[8:9]
	s_cbranch_execz .LBB7_46
.LBB7_44:
	v_mov_b32_e32 v3, 0
	v_lshlrev_b64 v[4:5], 2, v[2:3]
	v_lshl_add_u32 v1, v2, 2, v1
	v_mov_b32_e32 v3, s11
	v_add_co_u32_e32 v4, vcc, s10, v4
	v_add3_u32 v1, v1, 0, 8
	v_addc_co_u32_e32 v5, vcc, v3, v5, vcc
	s_mov_b64 s[6:7], 0
.LBB7_45:                               ; =>This Inner Loop Header: Depth=1
	global_load_dword v3, v[4:5], off
	v_add_co_u32_e32 v4, vcc, 0x400, v4
	v_add_u32_e32 v2, 0x100, v2
	v_addc_co_u32_e32 v5, vcc, 0, v5, vcc
	v_cmp_le_i32_e32 vcc, s25, v2
	s_or_b64 s[6:7], vcc, s[6:7]
	s_waitcnt vmcnt(0)
	ds_write_b32 v1, v3
	v_add_u32_e32 v1, 0x400, v1
	s_andn2_b64 exec, exec, s[6:7]
	s_cbranch_execnz .LBB7_45
.LBB7_46:
	s_or_b64 exec, exec, s[4:5]
	s_add_i32 s34, s36, 4
	s_cmp_lg_u32 s44, 0
	s_waitcnt lgkmcnt(0)
	s_barrier
	s_cbranch_scc1 .LBB7_57
; %bb.47:
	s_mov_b32 s41, 0
	s_cmp_lt_i32 s25, 1
	v_mov_b32_e32 v2, 0
	s_cbranch_scc1 .LBB7_54
; %bb.48:
	v_lshlrev_b32_e32 v2, 2, v12
	v_and_b32_e32 v3, 0xc0, v2
	v_cmp_eq_u32_e32 vcc, 0, v12
	s_add_i32 s42, s37, -1
	v_add_u32_e32 v1, -4, v3
	v_cmp_lt_u32_e64 s[4:5], 15, v12
	v_add_u32_e32 v3, 0xffffffbc, v3
	v_cmp_lt_u32_e64 s[6:7], 31, v12
	v_add_u32_e32 v4, 0, v2
	s_branch .LBB7_50
.LBB7_49:                               ;   in Loop: Header=BB7_50 Depth=1
	s_or_b64 exec, exec, s[26:27]
	s_add_i32 s41, s41, 64
	s_cmp_lt_i32 s41, s25
	v_add_u32_e32 v4, 0x100, v4
	s_waitcnt lgkmcnt(0)
	s_cbranch_scc0 .LBB7_54
.LBB7_50:                               ; =>This Inner Loop Header: Depth=1
	ds_read_b32 v7, v4 offset:4
	v_mov_b32_e32 v2, s41
	v_add_u32_e32 v5, s35, v4
	ds_read_b32 v6, v5 offset:8
	v_cndmask_b32_e32 v2, 0, v2, vcc
	s_waitcnt lgkmcnt(1)
	v_add_u32_e32 v7, s42, v7
	v_lshlrev_b32_e32 v2, 2, v2
	v_mul_hi_u32 v14, v7, s38
	v_add_u32_e32 v13, 0, v2
	v_add_u32_e32 v7, v7, v14
	v_lshrrev_b32_e32 v14, s39, v7
	v_add_u32_e32 v2, s34, v2
	ds_read_b32 v13, v13
	ds_read_b32 v7, v2
	v_mul_lo_u32 v2, v14, s37
	s_waitcnt lgkmcnt(2)
	v_cmp_ne_u32_e64 s[8:9], 0, v6
	v_cndmask_b32_e64 v2, 0, v2, s[8:9]
	s_waitcnt lgkmcnt(1)
	v_add_u32_e32 v2, v2, v13
	v_add_u32_e32 v14, s41, v12
	v_cmp_gt_i32_e64 s[8:9], s25, v14
	v_add_u32_dpp v2, v2, v2 row_shr:1 row_mask:0xf bank_mask:0xf bound_ctrl:1
	s_nop 1
	v_add_u32_dpp v2, v2, v2 row_shr:2 row_mask:0xf bank_mask:0xf bound_ctrl:1
	s_nop 1
	;; [unrolled: 2-line block ×3, first 2 shown]
	v_add_u32_dpp v2, v2, v2 row_shr:8 row_mask:0xf bank_mask:0xf bound_ctrl:1
	ds_bpermute_b32 v13, v1, v2
	s_waitcnt lgkmcnt(0)
	v_cndmask_b32_e64 v13, 0, v13, s[4:5]
	v_add_u32_e32 v2, v2, v13
	ds_bpermute_b32 v13, v3, v2
	s_waitcnt lgkmcnt(0)
	v_cndmask_b32_e64 v13, 0, v13, s[6:7]
	v_add_u32_e32 v2, v2, v13
	s_and_saveexec_b64 s[26:27], s[8:9]
	s_cbranch_execz .LBB7_52
; %bb.51:                               ;   in Loop: Header=BB7_50 Depth=1
	ds_write_b32 v4, v2 offset:4
.LBB7_52:                               ;   in Loop: Header=BB7_50 Depth=1
	s_or_b64 exec, exec, s[26:27]
	v_add_u32_e32 v6, v6, v7
	s_nop 1
	v_add_u32_dpp v6, v6, v6 row_shr:1 row_mask:0xf bank_mask:0xf bound_ctrl:1
	s_nop 1
	v_add_u32_dpp v6, v6, v6 row_shr:2 row_mask:0xf bank_mask:0xf bound_ctrl:1
	s_nop 1
	v_add_u32_dpp v6, v6, v6 row_shr:4 row_mask:0xf bank_mask:0xf bound_ctrl:1
	s_nop 1
	v_add_u32_dpp v6, v6, v6 row_shr:8 row_mask:0xf bank_mask:0xf bound_ctrl:1
	ds_bpermute_b32 v7, v1, v6
	s_waitcnt lgkmcnt(0)
	v_cndmask_b32_e64 v7, 0, v7, s[4:5]
	v_add_u32_e32 v6, v7, v6
	ds_bpermute_b32 v7, v3, v6
	s_and_saveexec_b64 s[26:27], s[8:9]
	s_cbranch_execz .LBB7_49
; %bb.53:                               ;   in Loop: Header=BB7_50 Depth=1
	s_waitcnt lgkmcnt(0)
	v_cndmask_b32_e64 v7, 0, v7, s[6:7]
	v_add_u32_e32 v6, v7, v6
	ds_write_b32 v5, v6 offset:8
	s_branch .LBB7_49
.LBB7_54:
	v_add_u32_e32 v1, s41, v12
	v_subrev_u32_e32 v1, 63, v1
	v_cmp_eq_u32_e32 vcc, s25, v1
	s_and_saveexec_b64 s[4:5], vcc
	s_cbranch_execz .LBB7_56
; %bb.55:
	v_mov_b32_e32 v1, 0
	v_mov_b32_e32 v3, s24
	global_store_dwordx2 v1, v[2:3], s[18:19]
.LBB7_56:
	s_or_b64 exec, exec, s[4:5]
.LBB7_57:
	s_cmp_eq_u64 s[22:23], 0
	s_barrier
	s_cbranch_scc1 .LBB7_64
; %bb.58:
	s_mul_i32 s18, s40, s24
	v_cmp_gt_i32_e32 vcc, s18, v0
	s_and_saveexec_b64 s[6:7], vcc
	s_cbranch_execz .LBB7_63
; %bb.59:
	v_lshlrev_b32_e32 v1, 2, v0
	v_mov_b32_e32 v3, s29
	v_add_co_u32_e32 v2, vcc, s28, v1
	v_addc_co_u32_e32 v3, vcc, 0, v3, vcc
	v_mov_b32_e32 v5, s23
	v_add_co_u32_e32 v4, vcc, s22, v1
	v_addc_co_u32_e32 v5, vcc, 0, v5, vcc
	s_mov_b64 s[8:9], 0
	v_mov_b32_e32 v1, s11
	v_mov_b32_e32 v13, v0
	s_branch .LBB7_61
.LBB7_60:                               ;   in Loop: Header=BB7_61 Depth=1
	s_or_b64 exec, exec, s[4:5]
	v_add_co_u32_e32 v2, vcc, 0x400, v2
	v_add_u32_e32 v13, 0x100, v13
	v_addc_co_u32_e32 v3, vcc, 0, v3, vcc
	s_waitcnt lgkmcnt(0)
	global_store_dword v[4:5], v7, off
	v_add_co_u32_e32 v4, vcc, 0x400, v4
	v_cmp_le_i32_e64 s[4:5], s18, v13
	s_or_b64 s[8:9], s[4:5], s[8:9]
	v_addc_co_u32_e32 v5, vcc, 0, v5, vcc
	s_andn2_b64 exec, exec, s[8:9]
	s_cbranch_execz .LBB7_63
.LBB7_61:                               ; =>This Inner Loop Header: Depth=1
	global_load_dword v6, v[2:3], off
	s_waitcnt vmcnt(0)
	v_ashrrev_i32_e32 v7, 31, v6
	v_lshlrev_b64 v[14:15], 2, v[6:7]
	v_add_co_u32_e32 v14, vcc, s10, v14
	v_addc_co_u32_e32 v15, vcc, v1, v15, vcc
	global_load_dword v7, v[14:15], off
	s_waitcnt vmcnt(0)
	v_cmp_ne_u32_e32 vcc, 0, v7
	v_mov_b32_e32 v7, -1
	s_and_saveexec_b64 s[4:5], vcc
	s_cbranch_execz .LBB7_60
; %bb.62:                               ;   in Loop: Header=BB7_61 Depth=1
	v_lshl_add_u32 v6, v6, 2, s34
	ds_read_b32 v7, v6
	s_branch .LBB7_60
.LBB7_63:
	s_or_b64 exec, exec, s[6:7]
	s_barrier
.LBB7_64:
	s_and_saveexec_b64 s[6:7], s[2:3]
	s_cbranch_execz .LBB7_71
; %bb.65:
	s_mov_b64 s[8:9], 0
	v_mov_b32_e32 v3, 0
	v_mov_b32_e32 v4, v0
	s_branch .LBB7_67
.LBB7_66:                               ;   in Loop: Header=BB7_67 Depth=1
	s_or_b64 exec, exec, s[18:19]
	v_add_u32_e32 v4, 0x100, v4
	v_cmp_le_i32_e32 vcc, s25, v4
	s_or_b64 s[8:9], vcc, s[8:9]
	s_andn2_b64 exec, exec, s[8:9]
	s_cbranch_execz .LBB7_71
.LBB7_67:                               ; =>This Loop Header: Depth=1
                                        ;     Child Loop BB7_70 Depth 2
	s_waitcnt lgkmcnt(1)
	v_lshlrev_b32_e32 v1, 2, v4
	v_add_u32_e32 v2, 0, v1
	ds_read2_b32 v[6:7], v2 offset1:1
	v_add_u32_e32 v2, s34, v1
	ds_read_b32 v1, v2
	s_waitcnt lgkmcnt(1)
	v_cmp_ne_u32_e32 vcc, v6, v7
	ds_write_b32 v2, v6
	s_and_saveexec_b64 s[18:19], vcc
	s_cbranch_execz .LBB7_66
; %bb.68:                               ;   in Loop: Header=BB7_67 Depth=1
	v_mov_b32_e32 v5, v3
	v_lshlrev_b64 v[14:15], 2, v[4:5]
	v_mov_b32_e32 v2, s11
	v_add_co_u32_e32 v14, vcc, s10, v14
	v_addc_co_u32_e32 v15, vcc, v2, v15, vcc
	global_load_dword v2, v[14:15], off
	v_cmp_lt_i32_e64 s[4:5], v6, v7
	s_waitcnt vmcnt(0)
	v_cmp_ne_u32_e32 vcc, 0, v2
	s_and_b64 s[4:5], s[4:5], vcc
	s_and_b64 exec, exec, s[4:5]
	s_cbranch_execz .LBB7_66
; %bb.69:                               ;   in Loop: Header=BB7_67 Depth=1
	s_mov_b64 s[4:5], 0
.LBB7_70:                               ;   Parent Loop BB7_67 Depth=1
                                        ; =>  This Inner Loop Header: Depth=2
	v_mul_hi_u32 v2, s38, v6
	v_add_u32_e32 v2, v6, v2
	v_add_u32_e32 v6, s37, v6
	v_lshrrev_b32_e32 v2, s39, v2
	v_cmp_ge_i32_e32 vcc, v6, v7
	v_lshlrev_b64 v[14:15], 2, v[2:3]
	v_mov_b32_e32 v5, s17
	s_or_b64 s[4:5], vcc, s[4:5]
	v_add_co_u32_e32 v14, vcc, s16, v14
	v_addc_co_u32_e32 v15, vcc, v5, v15, vcc
	s_waitcnt lgkmcnt(1)
	global_store_dword v[14:15], v1, off
	s_andn2_b64 exec, exec, s[4:5]
	s_cbranch_execnz .LBB7_70
	s_branch .LBB7_66
.LBB7_71:
	s_or_b64 exec, exec, s[6:7]
	s_waitcnt lgkmcnt(1)
	v_mov_b32_e32 v1, s36
	s_waitcnt lgkmcnt(0)
	s_barrier
	ds_read_b32 v1, v1
	s_add_i32 s4, s36, s35
	v_mov_b32_e32 v2, s4
	s_andn2_b64 vcc, exec, s[20:21]
	s_waitcnt lgkmcnt(0)
	ds_write_b32 v2, v1 offset:4
	s_cbranch_vccnz .LBB7_85
; %bb.72:
	s_add_u32 s29, s12, -4
	s_addc_u32 s35, s13, -1
	s_add_u32 s30, s30, -4
	s_addc_u32 s31, s31, -1
	;; [unrolled: 2-line block ×3, first 2 shown]
	s_lshl_b32 s6, s25, 3
	v_and_b32_e32 v1, 8, v12
	v_add3_u32 v2, v10, s6, v11
	s_lshl_b32 s39, s25, 5
	v_cmp_gt_i32_e32 vcc, s33, v9
	s_mov_b32 s28, 0
	v_cmp_eq_u32_e64 s[4:5], 0, v1
	v_lshl_or_b32 v1, v0, 2, 28
	v_mul_lo_u32 v4, s40, v9
	s_lshl_b32 s38, s40, 3
	v_add3_u32 v5, v2, 0, 8
	s_add_i32 s39, s39, 32
	v_mov_b32_e32 v3, 0
	s_mov_b32 s41, 0x4020100
	s_branch .LBB7_74
.LBB7_73:                               ;   in Loop: Header=BB7_74 Depth=1
	s_or_b64 exec, exec, s[16:17]
	s_add_i32 s28, s28, s33
	s_cmp_ge_i32 s28, s24
	v_add_u32_e32 v4, s43, v4
	s_waitcnt lgkmcnt(0)
	s_barrier
	s_cbranch_scc1 .LBB7_85
.LBB7_74:                               ; =>This Loop Header: Depth=1
                                        ;     Child Loop BB7_79 Depth 2
                                        ;       Child Loop BB7_83 Depth 3
	s_and_saveexec_b64 s[16:17], s[0:1]
	s_cbranch_execz .LBB7_73
; %bb.75:                               ;   in Loop: Header=BB7_74 Depth=1
	s_mov_b64 s[18:19], 0
	v_mov_b32_e32 v6, v5
	v_mov_b32_e32 v2, v8
	s_branch .LBB7_79
.LBB7_76:                               ;   in Loop: Header=BB7_79 Depth=2
	s_or_b64 exec, exec, s[26:27]
.LBB7_77:                               ;   in Loop: Header=BB7_79 Depth=2
	s_or_b64 exec, exec, s[22:23]
	s_waitcnt lgkmcnt(0)
	ds_write_b32 v7, v10
.LBB7_78:                               ;   in Loop: Header=BB7_79 Depth=2
	s_or_b64 exec, exec, s[20:21]
	v_add_u32_e32 v2, 32, v2
	v_cmp_le_i32_e64 s[6:7], s25, v2
	s_or_b64 s[18:19], s[6:7], s[18:19]
	v_add_u32_e32 v6, 0x80, v6
	s_andn2_b64 exec, exec, s[18:19]
	s_cbranch_execz .LBB7_73
.LBB7_79:                               ;   Parent Loop BB7_74 Depth=1
                                        ; =>  This Loop Header: Depth=2
                                        ;       Child Loop BB7_83 Depth 3
	v_lshlrev_b64 v[10:11], 2, v[2:3]
	v_mov_b32_e32 v7, s11
	v_add_co_u32_e64 v10, s[6:7], s10, v10
	v_addc_co_u32_e64 v11, s[6:7], v7, v11, s[6:7]
	global_load_dword v7, v[10:11], off
	s_waitcnt vmcnt(0)
	v_cmp_ne_u32_e64 s[6:7], 0, v7
	s_and_saveexec_b64 s[20:21], s[6:7]
	s_cbranch_execz .LBB7_78
; %bb.80:                               ;   in Loop: Header=BB7_79 Depth=2
	v_lshl_add_u32 v7, v2, 2, 0
	ds_read_b32 v10, v7
	s_and_saveexec_b64 s[22:23], vcc
	s_cbranch_execz .LBB7_77
; %bb.81:                               ;   in Loop: Header=BB7_79 Depth=2
	s_mov_b64 s[26:27], 0
	v_mov_b32_e32 v11, v6
	v_mov_b32_e32 v12, v4
	;; [unrolled: 1-line block ×3, first 2 shown]
	s_branch .LBB7_83
.LBB7_82:                               ;   in Loop: Header=BB7_83 Depth=3
	s_or_b64 exec, exec, s[8:9]
	ds_bpermute_b32 v14, v1, v14
	v_add_u32_e32 v13, 8, v13
	v_cmp_le_i32_e64 s[6:7], s33, v13
	v_add_u32_e32 v12, s38, v12
	s_or_b64 s[26:27], s[6:7], s[26:27]
	s_waitcnt lgkmcnt(0)
	v_add_u32_e32 v10, v14, v10
	v_add_u32_e32 v11, s39, v11
	s_andn2_b64 exec, exec, s[26:27]
	s_cbranch_execz .LBB7_76
.LBB7_83:                               ;   Parent Loop BB7_74 Depth=1
                                        ;     Parent Loop BB7_79 Depth=2
                                        ; =>    This Inner Loop Header: Depth=3
	ds_read_b32 v15, v11
	s_waitcnt lgkmcnt(0)
	v_cmp_ne_u32_e64 s[6:7], 0, v15
	v_cndmask_b32_e64 v14, 0, 1, s[6:7]
	s_nop 1
	v_mov_b32_dpp v14, v14 row_shr:1 row_mask:0xf bank_mask:0xf bound_ctrl:1
	v_addc_co_u32_e64 v16, s[8:9], 0, v14, s[6:7]
	s_nop 1
	v_mov_b32_dpp v16, v16 row_shr:2 row_mask:0xf bank_mask:0xf bound_ctrl:1
	v_addc_co_u32_e64 v14, s[8:9], v16, v14, s[6:7]
	s_nop 1
	v_add_u32_dpp v14, v14, v14 row_shr:4 row_mask:0xf bank_mask:0xf bound_ctrl:1
	s_nop 1
	v_add_u32_dpp v14, v14, v14 row_shr:8 row_mask:0xf bank_mask:0xf bound_ctrl:1
	s_nop 1
	v_mov_b32_dpp v16, v14 row_newbcast:7 row_mask:0xf bank_mask:0xf bound_ctrl:1
	v_cndmask_b32_e64 v16, v16, 0, s[4:5]
	v_sub_u32_e32 v14, v14, v16
	s_and_saveexec_b64 s[8:9], s[6:7]
	s_cbranch_execz .LBB7_82
; %bb.84:                               ;   in Loop: Header=BB7_83 Depth=3
	v_add_u32_e32 v16, v12, v15
	v_ashrrev_i32_e32 v17, 31, v16
	v_lshlrev_b64 v[16:17], 2, v[16:17]
	v_mov_b32_e32 v18, s31
	v_add_co_u32_e64 v16, s[6:7], s30, v16
	v_addc_co_u32_e64 v17, s[6:7], v18, v17, s[6:7]
	global_load_dword v20, v[16:17], off
	v_add_u32_e32 v16, s28, v13
	v_perm_b32 v15, v15, v16, s41
	v_add_u32_e32 v16, v14, v10
	v_ashrrev_i32_e32 v17, 31, v16
	v_lshlrev_b64 v[16:17], 2, v[16:17]
	v_mov_b32_e32 v19, s35
	v_add_co_u32_e64 v18, s[6:7], s29, v16
	v_add_u32_e32 v15, 0xff000000, v15
	v_addc_co_u32_e64 v19, s[6:7], v19, v17, s[6:7]
	global_store_dword v[18:19], v15, off
	v_mov_b32_e32 v15, s37
	v_add_co_u32_e64 v16, s[6:7], s36, v16
	v_addc_co_u32_e64 v17, s[6:7], v15, v17, s[6:7]
	s_waitcnt vmcnt(1)
	global_store_dword v[16:17], v20, off
	s_branch .LBB7_82
.LBB7_85:
	s_and_saveexec_b64 s[0:1], s[2:3]
	s_cbranch_execz .LBB7_96
; %bb.86:
	s_and_b32 s0, s24, 0xffffff
	s_lshl_b32 s1, s40, 24
	s_or_b32 s4, s1, s0
	s_mov_b32 s5, s4
	s_add_i32 s34, s34, 4
	s_mov_b64 s[2:3], 0
	s_mov_b32 s8, 0
	v_mov_b32_e32 v1, 0
	s_branch .LBB7_88
.LBB7_87:                               ;   in Loop: Header=BB7_88 Depth=1
	s_or_b64 exec, exec, s[16:17]
	v_add_u32_e32 v0, 0x100, v0
	v_cmp_le_i32_e32 vcc, s25, v0
	s_or_b64 s[2:3], vcc, s[2:3]
	s_andn2_b64 exec, exec, s[2:3]
	s_cbranch_execz .LBB7_96
.LBB7_88:                               ; =>This Loop Header: Depth=1
                                        ;     Child Loop BB7_91 Depth 2
                                        ;     Child Loop BB7_95 Depth 2
	v_lshlrev_b32_e32 v2, 2, v0
	v_add_u32_e32 v3, 0, v2
	v_add_u32_e32 v4, s34, v2
	ds_read_b32 v2, v3
	ds_read_b32 v8, v4
	s_waitcnt lgkmcnt(0)
	v_cmp_gt_i32_e32 vcc, v8, v2
	s_and_saveexec_b64 s[16:17], vcc
	s_cbranch_execz .LBB7_87
; %bb.89:                               ;   in Loop: Header=BB7_88 Depth=1
	v_sub_u32_e32 v3, v8, v2
	v_cmp_lt_u32_e32 vcc, 15, v3
	s_mov_b64 s[6:7], -1
	s_and_saveexec_b64 s[0:1], vcc
	s_cbranch_execz .LBB7_93
; %bb.90:                               ;   in Loop: Header=BB7_88 Depth=1
	v_and_b32_e32 v6, -16, v3
	s_mov_b64 s[18:19], 0
	v_mov_b32_e32 v4, v2
	v_mov_b32_e32 v7, v6
.LBB7_91:                               ;   Parent Loop BB7_88 Depth=1
                                        ; =>  This Inner Loop Header: Depth=2
	v_ashrrev_i32_e32 v5, 31, v4
	v_lshlrev_b64 v[14:15], 2, v[4:5]
	v_mov_b32_e32 v5, s13
	v_add_co_u32_e32 v16, vcc, s12, v14
	v_addc_co_u32_e32 v17, vcc, v5, v15, vcc
	s_mov_b32 s6, s4
	s_mov_b32 s7, s5
	v_pk_mov_b32 v[12:13], s[6:7], s[6:7] op_sel:[0,1]
	v_mov_b32_e32 v5, s15
	v_add_co_u32_e32 v14, vcc, s14, v14
	v_pk_mov_b32 v[10:11], s[4:5], s[4:5] op_sel:[0,1]
	v_addc_co_u32_e32 v15, vcc, v5, v15, vcc
	s_mov_b32 s10, s8
	s_mov_b32 s11, s8
	v_add_u32_e32 v7, -16, v7
	global_store_dwordx4 v[16:17], v[10:13], off
	global_store_dwordx4 v[16:17], v[10:13], off offset:16
	global_store_dwordx4 v[16:17], v[10:13], off offset:32
	;; [unrolled: 1-line block ×3, first 2 shown]
	s_mov_b32 s9, s8
	v_pk_mov_b32 v[12:13], s[10:11], s[10:11] op_sel:[0,1]
	v_cmp_eq_u32_e32 vcc, 0, v7
	v_pk_mov_b32 v[10:11], s[8:9], s[8:9] op_sel:[0,1]
	s_or_b64 s[18:19], vcc, s[18:19]
	v_add_u32_e32 v4, 16, v4
	global_store_dwordx4 v[14:15], v[10:13], off
	global_store_dwordx4 v[14:15], v[10:13], off offset:16
	global_store_dwordx4 v[14:15], v[10:13], off offset:32
	;; [unrolled: 1-line block ×3, first 2 shown]
	s_andn2_b64 exec, exec, s[18:19]
	s_cbranch_execnz .LBB7_91
; %bb.92:                               ;   in Loop: Header=BB7_88 Depth=1
	s_or_b64 exec, exec, s[18:19]
	v_cmp_ne_u32_e32 vcc, v3, v6
	v_add_u32_e32 v2, v2, v6
	s_orn2_b64 s[6:7], vcc, exec
.LBB7_93:                               ;   in Loop: Header=BB7_88 Depth=1
	s_or_b64 exec, exec, s[0:1]
	s_and_b64 exec, exec, s[6:7]
	s_cbranch_execz .LBB7_87
; %bb.94:                               ;   in Loop: Header=BB7_88 Depth=1
	v_ashrrev_i32_e32 v3, 31, v2
	v_lshlrev_b64 v[6:7], 2, v[2:3]
	v_mov_b32_e32 v3, s13
	v_add_co_u32_e32 v4, vcc, s12, v6
	v_addc_co_u32_e32 v5, vcc, v3, v7, vcc
	v_mov_b32_e32 v3, s15
	v_add_co_u32_e32 v6, vcc, s14, v6
	v_addc_co_u32_e32 v7, vcc, v3, v7, vcc
	s_mov_b64 s[6:7], 0
.LBB7_95:                               ;   Parent Loop BB7_88 Depth=1
                                        ; =>  This Inner Loop Header: Depth=2
	global_store_dword v[6:7], v1, off
	v_add_co_u32_e32 v6, vcc, 4, v6
	v_mov_b32_e32 v3, s4
	v_add_u32_e32 v2, 1, v2
	v_addc_co_u32_e32 v7, vcc, 0, v7, vcc
	global_store_dword v[4:5], v3, off
	v_cmp_ge_i32_e32 vcc, v2, v8
	v_add_co_u32_e64 v4, s[0:1], 4, v4
	s_or_b64 s[6:7], vcc, s[6:7]
	v_addc_co_u32_e64 v5, vcc, 0, v5, s[0:1]
	s_andn2_b64 exec, exec, s[6:7]
	s_cbranch_execnz .LBB7_95
	s_branch .LBB7_87
.LBB7_96:
	s_endpgm
	.section	.rodata,"a",@progbits
	.p2align	6, 0x0
	.amdhsa_kernel _ZN5aiter22opus_moe_sorting_entryINS_16MoeSortingKernelINS_19MoeSortingProblemExIifLi2ELb1ELb1ELb0ELb1ELi0EEEEENS4_5KargsEEEvT0_
		.amdhsa_group_segment_fixed_size 0
		.amdhsa_private_segment_fixed_size 0
		.amdhsa_kernarg_size 400
		.amdhsa_user_sgpr_count 6
		.amdhsa_user_sgpr_private_segment_buffer 1
		.amdhsa_user_sgpr_dispatch_ptr 0
		.amdhsa_user_sgpr_queue_ptr 0
		.amdhsa_user_sgpr_kernarg_segment_ptr 1
		.amdhsa_user_sgpr_dispatch_id 0
		.amdhsa_user_sgpr_flat_scratch_init 0
		.amdhsa_user_sgpr_kernarg_preload_length 0
		.amdhsa_user_sgpr_kernarg_preload_offset 0
		.amdhsa_user_sgpr_private_segment_size 0
		.amdhsa_uses_dynamic_stack 0
		.amdhsa_system_sgpr_private_segment_wavefront_offset 0
		.amdhsa_system_sgpr_workgroup_id_x 1
		.amdhsa_system_sgpr_workgroup_id_y 0
		.amdhsa_system_sgpr_workgroup_id_z 0
		.amdhsa_system_sgpr_workgroup_info 0
		.amdhsa_system_vgpr_workitem_id 0
		.amdhsa_next_free_vgpr 21
		.amdhsa_next_free_sgpr 46
		.amdhsa_accum_offset 24
		.amdhsa_reserve_vcc 1
		.amdhsa_reserve_flat_scratch 0
		.amdhsa_float_round_mode_32 0
		.amdhsa_float_round_mode_16_64 0
		.amdhsa_float_denorm_mode_32 3
		.amdhsa_float_denorm_mode_16_64 3
		.amdhsa_dx10_clamp 1
		.amdhsa_ieee_mode 1
		.amdhsa_fp16_overflow 0
		.amdhsa_tg_split 0
		.amdhsa_exception_fp_ieee_invalid_op 0
		.amdhsa_exception_fp_denorm_src 0
		.amdhsa_exception_fp_ieee_div_zero 0
		.amdhsa_exception_fp_ieee_overflow 0
		.amdhsa_exception_fp_ieee_underflow 0
		.amdhsa_exception_fp_ieee_inexact 0
		.amdhsa_exception_int_div_zero 0
	.end_amdhsa_kernel
	.section	.text._ZN5aiter22opus_moe_sorting_entryINS_16MoeSortingKernelINS_19MoeSortingProblemExIifLi2ELb1ELb1ELb0ELb1ELi0EEEEENS4_5KargsEEEvT0_,"axG",@progbits,_ZN5aiter22opus_moe_sorting_entryINS_16MoeSortingKernelINS_19MoeSortingProblemExIifLi2ELb1ELb1ELb0ELb1ELi0EEEEENS4_5KargsEEEvT0_,comdat
.Lfunc_end7:
	.size	_ZN5aiter22opus_moe_sorting_entryINS_16MoeSortingKernelINS_19MoeSortingProblemExIifLi2ELb1ELb1ELb0ELb1ELi0EEEEENS4_5KargsEEEvT0_, .Lfunc_end7-_ZN5aiter22opus_moe_sorting_entryINS_16MoeSortingKernelINS_19MoeSortingProblemExIifLi2ELb1ELb1ELb0ELb1ELi0EEEEENS4_5KargsEEEvT0_
                                        ; -- End function
	.section	.AMDGPU.csdata,"",@progbits
; Kernel info:
; codeLenInByte = 4176
; NumSgprs: 50
; NumVgprs: 21
; NumAgprs: 0
; TotalNumVgprs: 21
; ScratchSize: 0
; MemoryBound: 0
; FloatMode: 240
; IeeeMode: 1
; LDSByteSize: 0 bytes/workgroup (compile time only)
; SGPRBlocks: 6
; VGPRBlocks: 2
; NumSGPRsForWavesPerEU: 50
; NumVGPRsForWavesPerEU: 21
; AccumOffset: 24
; Occupancy: 8
; WaveLimiterHint : 1
; COMPUTE_PGM_RSRC2:SCRATCH_EN: 0
; COMPUTE_PGM_RSRC2:USER_SGPR: 6
; COMPUTE_PGM_RSRC2:TRAP_HANDLER: 0
; COMPUTE_PGM_RSRC2:TGID_X_EN: 1
; COMPUTE_PGM_RSRC2:TGID_Y_EN: 0
; COMPUTE_PGM_RSRC2:TGID_Z_EN: 0
; COMPUTE_PGM_RSRC2:TIDIG_COMP_CNT: 0
; COMPUTE_PGM_RSRC3_GFX90A:ACCUM_OFFSET: 5
; COMPUTE_PGM_RSRC3_GFX90A:TG_SPLIT: 0
	.section	.text._ZN5aiter22opus_moe_sorting_entryINS_16MoeSortingKernelINS_19MoeSortingProblemExIifLi1ELb1ELb1ELb0ELb1ELi0EEEEENS4_5KargsEEEvT0_,"axG",@progbits,_ZN5aiter22opus_moe_sorting_entryINS_16MoeSortingKernelINS_19MoeSortingProblemExIifLi1ELb1ELb1ELb0ELb1ELi0EEEEENS4_5KargsEEEvT0_,comdat
	.protected	_ZN5aiter22opus_moe_sorting_entryINS_16MoeSortingKernelINS_19MoeSortingProblemExIifLi1ELb1ELb1ELb0ELb1ELi0EEEEENS4_5KargsEEEvT0_ ; -- Begin function _ZN5aiter22opus_moe_sorting_entryINS_16MoeSortingKernelINS_19MoeSortingProblemExIifLi1ELb1ELb1ELb0ELb1ELi0EEEEENS4_5KargsEEEvT0_
	.globl	_ZN5aiter22opus_moe_sorting_entryINS_16MoeSortingKernelINS_19MoeSortingProblemExIifLi1ELb1ELb1ELb0ELb1ELi0EEEEENS4_5KargsEEEvT0_
	.p2align	8
	.type	_ZN5aiter22opus_moe_sorting_entryINS_16MoeSortingKernelINS_19MoeSortingProblemExIifLi1ELb1ELb1ELb0ELb1ELi0EEEEENS4_5KargsEEEvT0_,@function
_ZN5aiter22opus_moe_sorting_entryINS_16MoeSortingKernelINS_19MoeSortingProblemExIifLi1ELb1ELb1ELb0ELb1ELi0EEEEENS4_5KargsEEEvT0_: ; @_ZN5aiter22opus_moe_sorting_entryINS_16MoeSortingKernelINS_19MoeSortingProblemExIifLi1ELb1ELb1ELb0ELb1ELi0EEEEENS4_5KargsEEEvT0_
; %bb.0:
	s_load_dwordx8 s[12:19], s[4:5], 0x20
	s_load_dwordx8 s[20:27], s[4:5], 0x40
	s_cmp_eq_u32 s6, 0
	s_cbranch_scc1 .LBB8_7
; %bb.1:
	s_waitcnt lgkmcnt(0)
	s_cmp_eq_u64 s[20:21], 0
	s_mov_b64 s[2:3], 0
	s_cbranch_scc1 .LBB8_6
; %bb.2:
	s_mul_i32 s1, s26, s24
	s_ashr_i32 s7, s27, 31
	s_mul_hi_i32 s0, s26, s24
	s_mul_i32 s7, s1, s7
	s_mul_hi_u32 s8, s1, s27
	s_add_i32 s7, s8, s7
	s_mul_i32 s0, s0, s27
	s_add_i32 s8, s7, s0
	s_ashr_i32 s0, s8, 31
	s_mul_i32 s1, s1, s27
	s_lshr_b32 s0, s0, 28
	s_add_u32 s0, s1, s0
	s_addc_u32 s1, s8, 0
	v_lshl_add_u32 v1, s6, 8, v0
	s_ashr_i64 s[8:9], s[0:1], 4
	v_add_u32_e32 v2, 0xffffff00, v1
	v_mov_b32_e32 v3, 0
	s_mov_b32 s7, 0
	v_cmp_gt_i64_e32 vcc, s[8:9], v[2:3]
	s_and_saveexec_b64 s[10:11], vcc
	s_cbranch_execz .LBB8_5
; %bb.3:
	s_load_dword s0, s[4:5], 0x90
	v_lshlrev_b64 v[4:5], 4, v[2:3]
	v_mov_b32_e32 v1, s21
	v_add_co_u32_e32 v8, vcc, s20, v4
	s_waitcnt lgkmcnt(0)
	s_lshl_b32 s0, s0, 8
	s_add_i32 s6, s0, 0xffffff00
	s_lshl_b64 s[20:21], s[6:7], 4
	v_pk_mov_b32 v[6:7], v[2:3], v[2:3] op_sel:[0,1]
	v_addc_co_u32_e32 v9, vcc, v1, v5, vcc
	s_mov_b64 s[26:27], 0
	v_mov_b32_e32 v2, v3
	v_mov_b32_e32 v4, v3
	;; [unrolled: 1-line block ×5, first 2 shown]
.LBB8_4:                                ; =>This Inner Loop Header: Depth=1
	v_add_co_u32_e32 v6, vcc, s6, v6
	v_addc_co_u32_e32 v7, vcc, v7, v1, vcc
	global_store_dwordx4 v[8:9], v[2:5], off
	v_add_co_u32_e32 v8, vcc, s20, v8
	v_cmp_le_i64_e64 s[0:1], s[8:9], v[6:7]
	s_or_b64 s[26:27], s[0:1], s[26:27]
	v_addc_co_u32_e32 v9, vcc, v9, v10, vcc
	s_andn2_b64 exec, exec, s[26:27]
	s_cbranch_execnz .LBB8_4
.LBB8_5:
	s_or_b64 exec, exec, s[10:11]
.LBB8_6:
	s_andn2_b64 vcc, exec, s[2:3]
	s_cbranch_vccz .LBB8_8
	s_branch .LBB8_96
.LBB8_7:
.LBB8_8:
	s_load_dwordx8 s[36:43], s[4:5], 0x64
	s_load_dwordx4 s[28:31], s[4:5], 0x0
	s_load_dwordx2 s[10:11], s[4:5], 0x10
	s_load_dwordx2 s[0:1], s[4:5], 0x84
	v_lshrrev_b32_e32 v1, 6, v0
	s_waitcnt lgkmcnt(0)
	s_add_i32 s33, s36, -2
	s_mul_i32 s20, s33, s25
	v_readfirstlane_b32 s35, v1
	s_add_i32 s44, s25, 1
	v_cmp_gt_i32_e32 vcc, s20, v0
	s_and_saveexec_b64 s[2:3], vcc
	s_cbranch_execz .LBB8_18
; %bb.9:
	v_xad_u32 v2, v0, -1, s20
	s_movk_i32 s6, 0xff
	s_mov_b32 s5, 0
	s_mov_b32 s4, s0
	s_sub_i32 s0, s44, s43
	v_cmp_lt_u32_e32 vcc, s6, v2
	s_mov_b64 s[8:9], 0
                                        ; implicit-def: $vgpr1
                                        ; implicit-def: $sgpr21
	s_and_saveexec_b64 s[6:7], vcc
	s_xor_b64 s[6:7], exec, s[6:7]
	s_cbranch_execnz .LBB8_12
; %bb.10:
	s_or_saveexec_b64 s[6:7], s[6:7]
	v_mov_b32_e32 v2, s21
	s_xor_b64 exec, exec, s[6:7]
	s_cbranch_execnz .LBB8_15
.LBB8_11:
	s_or_b64 exec, exec, s[6:7]
	s_and_b64 exec, exec, s[8:9]
	s_cbranch_execnz .LBB8_16
	s_branch .LBB8_18
.LBB8_12:
	v_lshrrev_b32_e32 v1, 8, v2
	v_add_u32_e32 v4, 1, v1
	s_lshl_b32 s21, s25, 3
	v_and_b32_e32 v5, 0x1fffffe, v4
	v_add_u32_e32 v1, 0x100, v0
	s_add_i32 s8, s21, 0
	s_mov_b32 s26, s4
	s_mov_b32 s27, s1
	s_mov_b32 s34, s0
	v_lshl_add_u32 v6, v0, 2, s8
	s_mov_b64 s[8:9], 0
	v_mov_b32_e32 v7, 0
	v_mov_b32_e32 v8, v5
	v_pk_mov_b32 v[2:3], v[0:1], v[0:1] op_sel:[0,1]
.LBB8_13:                               ; =>This Inner Loop Header: Depth=1
	v_mul_hi_u32 v1, s4, v2
	v_mul_hi_u32 v9, s26, v3
	v_add_u32_e32 v9, v3, v9
	v_add_u32_e32 v1, v2, v1
	v_add_u32_e32 v8, -2, v8
	v_lshrrev_b32_e32 v1, s27, v1
	v_lshrrev_b32_e32 v9, s1, v9
	v_cmp_eq_u32_e32 vcc, 0, v8
	v_mul_lo_u32 v9, v9, s34
	v_mul_lo_u32 v1, v1, s0
	v_add_u32_e32 v3, 0x200, v3
	v_add_u32_e32 v2, 0x200, v2
	s_or_b64 s[8:9], vcc, s[8:9]
	v_lshl_add_u32 v1, v1, 2, v6
	v_lshl_add_u32 v9, v9, 2, v6
	v_add_u32_e32 v6, 0x800, v6
	ds_write_b32 v1, v7 offset:8
	ds_write_b32 v9, v7 offset:1032
	s_andn2_b64 exec, exec, s[8:9]
	s_cbranch_execnz .LBB8_13
; %bb.14:
	s_or_b64 exec, exec, s[8:9]
	v_cmp_ne_u32_e32 vcc, v4, v5
	v_lshl_add_u32 v1, v5, 8, v0
	s_and_b64 s[8:9], vcc, exec
	s_or_saveexec_b64 s[6:7], s[6:7]
	v_mov_b32_e32 v2, s21
	s_xor_b64 exec, exec, s[6:7]
	s_cbranch_execz .LBB8_11
.LBB8_15:
	s_lshl_b32 s21, s25, 3
	v_mov_b32_e32 v2, s21
	s_or_b64 s[8:9], s[8:9], exec
	v_mov_b32_e32 v1, v0
	s_or_b64 exec, exec, s[6:7]
	s_and_b64 exec, exec, s[8:9]
	s_cbranch_execz .LBB8_18
.LBB8_16:
	v_lshl_add_u32 v2, v1, 2, v2
	v_mad_u64_u32 v[4:5], s[6:7], v1, s4, 0
	s_lshl_b64 s[4:5], s[4:5], 8
	s_lshl_b32 s0, s0, 2
	v_add3_u32 v2, v2, 0, 8
	s_mov_b64 s[6:7], 0
	v_mov_b32_e32 v3, 0
	v_mov_b32_e32 v6, s5
.LBB8_17:                               ; =>This Inner Loop Header: Depth=1
	v_add_co_u32_e32 v4, vcc, s4, v4
	v_add_u32_e32 v7, v1, v5
	v_add_u32_e32 v1, 0x100, v1
	v_addc_co_u32_e32 v5, vcc, v5, v6, vcc
	v_lshrrev_b32_e32 v7, s1, v7
	v_cmp_le_i32_e32 vcc, s20, v1
	v_mad_u64_u32 v[8:9], s[8:9], s0, v7, v[2:3]
	v_add_u32_e32 v2, 0x400, v2
	s_or_b64 s[6:7], vcc, s[6:7]
	ds_write_b32 v8, v3
	s_andn2_b64 exec, exec, s[6:7]
	s_cbranch_execnz .LBB8_17
.LBB8_18:
	s_or_b64 exec, exec, s[2:3]
	s_cmp_gt_i32 s24, 0
	s_mov_b32 s3, 0
	s_cselect_b64 s[20:21], -1, 0
	s_cmp_lt_i32 s24, 1
	s_mul_i32 s34, s40, s33
	s_waitcnt lgkmcnt(0)
	s_barrier
	s_cbranch_scc1 .LBB8_26
; %bb.19:
	s_lshl_b32 s0, s44, 3
	s_mov_b32 s2, s41
	s_add_i32 s43, s0, 0
	v_cmp_gt_i32_e32 vcc, s34, v0
	s_sub_i32 s45, 0, s40
	v_mad_u64_u32 v[2:3], s[0:1], v0, s41, 0
	s_lshl_b64 s[4:5], s[2:3], 8
	v_mov_b32_e32 v5, 0
	s_mov_b32 s2, 0
	s_branch .LBB8_21
.LBB8_20:                               ;   in Loop: Header=BB8_21 Depth=1
	s_or_b64 exec, exec, s[6:7]
	s_add_i32 s2, s2, s33
	s_add_i32 s3, s3, s34
	s_cmp_ge_i32 s2, s24
	s_barrier
	s_cbranch_scc1 .LBB8_26
.LBB8_21:                               ; =>This Loop Header: Depth=1
                                        ;     Child Loop BB8_24 Depth 2
	s_and_saveexec_b64 s[6:7], vcc
	s_cbranch_execz .LBB8_20
; %bb.22:                               ;   in Loop: Header=BB8_21 Depth=1
	s_mov_b64 s[8:9], 0
	v_pk_mov_b32 v[6:7], v[2:3], v[2:3] op_sel:[0,1]
	v_mov_b32_e32 v1, v0
	s_branch .LBB8_24
.LBB8_23:                               ;   in Loop: Header=BB8_24 Depth=2
	s_or_b64 exec, exec, s[26:27]
	v_add_u32_e32 v1, 0x100, v1
	v_cmp_le_i32_e64 s[0:1], s34, v1
	v_mov_b32_e32 v4, s5
	s_or_b64 s[8:9], s[0:1], s[8:9]
	v_add_co_u32_e64 v6, s[0:1], s4, v6
	v_addc_co_u32_e64 v7, s[0:1], v7, v4, s[0:1]
	s_waitcnt lgkmcnt(0)
	s_andn2_b64 exec, exec, s[8:9]
	s_cbranch_execz .LBB8_20
.LBB8_24:                               ;   Parent Loop BB8_21 Depth=1
                                        ; =>  This Inner Loop Header: Depth=2
	v_add_u32_e32 v4, v1, v7
	v_lshrrev_b32_e32 v8, s42, v4
	v_add_u32_e32 v4, s2, v8
	v_cmp_gt_i32_e64 s[0:1], s24, v4
	s_and_saveexec_b64 s[26:27], s[0:1]
	s_cbranch_execz .LBB8_23
; %bb.25:                               ;   in Loop: Header=BB8_24 Depth=2
	v_add_u32_e32 v4, s3, v1
	v_lshlrev_b64 v[10:11], 2, v[4:5]
	v_mov_b32_e32 v4, s29
	v_add_co_u32_e64 v10, s[0:1], s28, v10
	v_addc_co_u32_e64 v11, s[0:1], v4, v11, s[0:1]
	global_load_dword v4, v[10:11], off
	v_mul_lo_u32 v9, s45, v8
	v_mul_lo_u32 v8, v8, s44
	v_lshlrev_b32_e32 v8, 2, v8
	v_add3_u32 v9, v1, v9, 1
	s_waitcnt vmcnt(0)
	v_lshlrev_b32_e32 v4, 2, v4
	v_add3_u32 v4, s43, v4, v8
	ds_write_b32 v4, v9
	s_branch .LBB8_23
.LBB8_26:
	v_cmp_eq_u32_e32 vcc, 0, v0
	s_and_saveexec_b64 s[0:1], vcc
	s_cbranch_execz .LBB8_28
; %bb.27:
	v_mov_b32_e32 v1, 0
	ds_write_b32 v1, v1
.LBB8_28:
	s_or_b64 exec, exec, s[0:1]
	v_mbcnt_lo_u32_b32 v1, -1, 0
	v_and_b32_e32 v9, 7, v0
	v_mbcnt_hi_u32_b32 v12, -1, v1
	v_lshrrev_b32_e32 v8, 3, v0
	v_mul_lo_u32 v1, s44, v9
	v_cmp_gt_i32_e64 s[0:1], s25, v8
	v_lshlrev_b32_e32 v10, 2, v1
	v_lshlrev_b32_e32 v11, 2, v8
	s_and_saveexec_b64 s[8:9], s[0:1]
	s_cbranch_execz .LBB8_36
; %bb.29:
	s_cmp_gt_i32 s36, 2
	s_cselect_b64 s[4:5], -1, 0
	s_lshl_b32 s6, s25, 3
	v_lshlrev_b32_e32 v3, 2, v12
	v_add3_u32 v4, v10, s6, v11
	s_lshl_b32 s36, s25, 5
	v_cndmask_b32_e64 v5, 0, 1, s[4:5]
	v_xor_b32_e32 v1, 4, v3
	v_xor_b32_e32 v2, 8, v3
	;; [unrolled: 1-line block ×3, first 2 shown]
	v_cmp_eq_u32_e64 s[2:3], 0, v9
	v_add3_u32 v4, v4, 0, 8
	s_add_i32 s36, s36, 32
	s_mov_b64 s[26:27], 0
	v_cmp_ne_u32_e64 s[4:5], 1, v5
	v_mov_b32_e32 v5, v8
	s_branch .LBB8_31
.LBB8_30:                               ;   in Loop: Header=BB8_31 Depth=1
	s_or_b64 exec, exec, s[6:7]
	v_add_u32_e32 v5, 32, v5
	v_cmp_le_i32_e32 vcc, s25, v5
	s_or_b64 s[26:27], vcc, s[26:27]
	v_add_u32_e32 v4, 0x80, v4
	s_andn2_b64 exec, exec, s[26:27]
	s_cbranch_execz .LBB8_36
.LBB8_31:                               ; =>This Loop Header: Depth=1
                                        ;     Child Loop BB8_33 Depth 2
	s_and_b64 vcc, exec, s[4:5]
	v_mov_b32_e32 v6, 0
	s_cbranch_vccnz .LBB8_34
; %bb.32:                               ;   in Loop: Header=BB8_31 Depth=1
	s_mov_b32 s41, 0
	v_mov_b32_e32 v6, 0
	v_mov_b32_e32 v7, v4
.LBB8_33:                               ;   Parent Loop BB8_31 Depth=1
                                        ; =>  This Inner Loop Header: Depth=2
	ds_read_b32 v13, v7
	s_add_i32 s41, s41, 8
	v_add_u32_e32 v7, s36, v7
	s_cmp_ge_i32 s41, s33
	s_waitcnt lgkmcnt(0)
	v_cmp_ne_u32_e32 vcc, 0, v13
	v_cndmask_b32_e64 v13, 0, 1, vcc
	ds_bpermute_b32 v13, v1, v13
	s_waitcnt lgkmcnt(0)
	v_addc_co_u32_e64 v14, s[6:7], 0, v13, vcc
	ds_bpermute_b32 v14, v2, v14
	s_waitcnt lgkmcnt(0)
	v_addc_co_u32_e32 v13, vcc, v14, v13, vcc
	ds_bpermute_b32 v14, v3, v13
	s_waitcnt lgkmcnt(0)
	v_add3_u32 v6, v14, v6, v13
	s_cbranch_scc0 .LBB8_33
.LBB8_34:                               ;   in Loop: Header=BB8_31 Depth=1
	s_and_saveexec_b64 s[6:7], s[2:3]
	s_cbranch_execz .LBB8_30
; %bb.35:                               ;   in Loop: Header=BB8_31 Depth=1
	v_lshl_add_u32 v7, v5, 2, 0
	ds_write_b32 v7, v6 offset:4
	s_branch .LBB8_30
.LBB8_36:
	s_or_b64 exec, exec, s[8:9]
	s_lshl_b32 s41, s25, 2
	s_add_i32 s42, s41, 0
	v_mov_b32_e32 v1, 0
	v_mov_b32_e32 v2, s42
	v_cmp_gt_i32_e64 s[2:3], s25, v0
	ds_write_b32 v2, v1 offset:4
	s_and_saveexec_b64 s[4:5], s[2:3]
	s_cbranch_execz .LBB8_46
; %bb.37:
	v_xad_u32 v1, v0, -1, s25
	s_movk_i32 s6, 0xff
	v_cmp_lt_u32_e32 vcc, s6, v1
	s_mov_b64 s[8:9], 0
                                        ; implicit-def: $vgpr2
	s_and_saveexec_b64 s[6:7], vcc
	s_xor_b64 s[6:7], exec, s[6:7]
	s_cbranch_execnz .LBB8_40
; %bb.38:
	s_or_saveexec_b64 s[6:7], s[6:7]
	v_mov_b32_e32 v1, s41
	s_xor_b64 exec, exec, s[6:7]
	s_cbranch_execnz .LBB8_43
.LBB8_39:
	s_or_b64 exec, exec, s[6:7]
	s_and_b64 exec, exec, s[8:9]
	s_cbranch_execnz .LBB8_44
	s_branch .LBB8_46
.LBB8_40:
	v_lshrrev_b32_e32 v1, 8, v1
	v_add_u32_e32 v6, 1, v1
	v_and_b32_e32 v7, 0x1fffffe, v6
	v_add_u32_e32 v1, 0x100, v0
	v_lshlrev_b32_e32 v2, 2, v0
	v_add3_u32 v13, s42, v2, 8
	v_mov_b32_e32 v14, s11
	v_mov_b32_e32 v3, 0
	;; [unrolled: 1-line block ×3, first 2 shown]
	v_pk_mov_b32 v[4:5], v[0:1], v[0:1] op_sel:[0,1]
.LBB8_41:                               ; =>This Inner Loop Header: Depth=1
	v_mov_b32_e32 v2, v4
	v_lshlrev_b64 v[16:17], 2, v[2:3]
	v_mov_b32_e32 v2, v5
	v_add_co_u32_e32 v16, vcc, s10, v16
	v_addc_co_u32_e32 v17, vcc, v14, v17, vcc
	v_lshlrev_b64 v[18:19], 2, v[2:3]
	v_add_co_u32_e32 v18, vcc, s10, v18
	v_addc_co_u32_e32 v19, vcc, v14, v19, vcc
	global_load_dword v1, v[16:17], off
	global_load_dword v2, v[18:19], off
	v_add_u32_e32 v15, -2, v15
	v_cmp_eq_u32_e32 vcc, 0, v15
	v_add_u32_e32 v4, 0x200, v4
	v_add_u32_e32 v5, 0x200, v5
	s_or_b64 s[8:9], vcc, s[8:9]
	s_waitcnt vmcnt(0)
	ds_write2st64_b32 v13, v1, v2 offset1:4
	v_add_u32_e32 v13, 0x800, v13
	s_andn2_b64 exec, exec, s[8:9]
	s_cbranch_execnz .LBB8_41
; %bb.42:
	s_or_b64 exec, exec, s[8:9]
	v_cmp_ne_u32_e32 vcc, v6, v7
	v_lshl_add_u32 v2, v7, 8, v0
	s_and_b64 s[8:9], vcc, exec
	s_or_saveexec_b64 s[6:7], s[6:7]
	v_mov_b32_e32 v1, s41
	s_xor_b64 exec, exec, s[6:7]
	s_cbranch_execz .LBB8_39
.LBB8_43:
	v_mov_b32_e32 v1, s41
	s_or_b64 s[8:9], s[8:9], exec
	v_mov_b32_e32 v2, v0
	s_or_b64 exec, exec, s[6:7]
	s_and_b64 exec, exec, s[8:9]
	s_cbranch_execz .LBB8_46
.LBB8_44:
	v_mov_b32_e32 v3, 0
	v_lshlrev_b64 v[4:5], 2, v[2:3]
	v_lshl_add_u32 v1, v2, 2, v1
	v_mov_b32_e32 v3, s11
	v_add_co_u32_e32 v4, vcc, s10, v4
	v_add3_u32 v1, v1, 0, 8
	v_addc_co_u32_e32 v5, vcc, v3, v5, vcc
	s_mov_b64 s[6:7], 0
.LBB8_45:                               ; =>This Inner Loop Header: Depth=1
	global_load_dword v3, v[4:5], off
	v_add_co_u32_e32 v4, vcc, 0x400, v4
	v_add_u32_e32 v2, 0x100, v2
	v_addc_co_u32_e32 v5, vcc, 0, v5, vcc
	v_cmp_le_i32_e32 vcc, s25, v2
	s_or_b64 s[6:7], vcc, s[6:7]
	s_waitcnt vmcnt(0)
	ds_write_b32 v1, v3
	v_add_u32_e32 v1, 0x400, v1
	s_andn2_b64 exec, exec, s[6:7]
	s_cbranch_execnz .LBB8_45
.LBB8_46:
	s_or_b64 exec, exec, s[4:5]
	s_add_i32 s36, s42, 4
	s_cmp_lg_u32 s35, 0
	s_waitcnt lgkmcnt(0)
	s_barrier
	s_cbranch_scc1 .LBB8_57
; %bb.47:
	s_mov_b32 s35, 0
	s_cmp_lt_i32 s25, 1
	v_mov_b32_e32 v2, 0
	s_cbranch_scc1 .LBB8_54
; %bb.48:
	v_lshlrev_b32_e32 v2, 2, v12
	v_and_b32_e32 v3, 0xc0, v2
	v_cmp_eq_u32_e32 vcc, 0, v12
	s_add_i32 s43, s37, -1
	v_add_u32_e32 v1, -4, v3
	v_cmp_lt_u32_e64 s[4:5], 15, v12
	v_add_u32_e32 v3, 0xffffffbc, v3
	v_cmp_lt_u32_e64 s[6:7], 31, v12
	v_add_u32_e32 v4, 0, v2
	s_branch .LBB8_50
.LBB8_49:                               ;   in Loop: Header=BB8_50 Depth=1
	s_or_b64 exec, exec, s[26:27]
	s_add_i32 s35, s35, 64
	s_cmp_lt_i32 s35, s25
	v_add_u32_e32 v4, 0x100, v4
	s_waitcnt lgkmcnt(0)
	s_cbranch_scc0 .LBB8_54
.LBB8_50:                               ; =>This Inner Loop Header: Depth=1
	ds_read_b32 v7, v4 offset:4
	v_mov_b32_e32 v2, s35
	v_add_u32_e32 v5, s41, v4
	ds_read_b32 v6, v5 offset:8
	v_cndmask_b32_e32 v2, 0, v2, vcc
	s_waitcnt lgkmcnt(1)
	v_add_u32_e32 v7, s43, v7
	v_lshlrev_b32_e32 v2, 2, v2
	v_mul_hi_u32 v14, v7, s38
	v_add_u32_e32 v13, 0, v2
	v_add_u32_e32 v7, v7, v14
	v_lshrrev_b32_e32 v14, s39, v7
	v_add_u32_e32 v2, s36, v2
	ds_read_b32 v13, v13
	ds_read_b32 v7, v2
	v_mul_lo_u32 v2, v14, s37
	s_waitcnt lgkmcnt(2)
	v_cmp_ne_u32_e64 s[8:9], 0, v6
	v_cndmask_b32_e64 v2, 0, v2, s[8:9]
	s_waitcnt lgkmcnt(1)
	v_add_u32_e32 v2, v2, v13
	v_add_u32_e32 v14, s35, v12
	v_cmp_gt_i32_e64 s[8:9], s25, v14
	v_add_u32_dpp v2, v2, v2 row_shr:1 row_mask:0xf bank_mask:0xf bound_ctrl:1
	s_nop 1
	v_add_u32_dpp v2, v2, v2 row_shr:2 row_mask:0xf bank_mask:0xf bound_ctrl:1
	s_nop 1
	;; [unrolled: 2-line block ×3, first 2 shown]
	v_add_u32_dpp v2, v2, v2 row_shr:8 row_mask:0xf bank_mask:0xf bound_ctrl:1
	ds_bpermute_b32 v13, v1, v2
	s_waitcnt lgkmcnt(0)
	v_cndmask_b32_e64 v13, 0, v13, s[4:5]
	v_add_u32_e32 v2, v2, v13
	ds_bpermute_b32 v13, v3, v2
	s_waitcnt lgkmcnt(0)
	v_cndmask_b32_e64 v13, 0, v13, s[6:7]
	v_add_u32_e32 v2, v2, v13
	s_and_saveexec_b64 s[26:27], s[8:9]
	s_cbranch_execz .LBB8_52
; %bb.51:                               ;   in Loop: Header=BB8_50 Depth=1
	ds_write_b32 v4, v2 offset:4
.LBB8_52:                               ;   in Loop: Header=BB8_50 Depth=1
	s_or_b64 exec, exec, s[26:27]
	v_add_u32_e32 v6, v6, v7
	s_nop 1
	v_add_u32_dpp v6, v6, v6 row_shr:1 row_mask:0xf bank_mask:0xf bound_ctrl:1
	s_nop 1
	v_add_u32_dpp v6, v6, v6 row_shr:2 row_mask:0xf bank_mask:0xf bound_ctrl:1
	;; [unrolled: 2-line block ×4, first 2 shown]
	ds_bpermute_b32 v7, v1, v6
	s_waitcnt lgkmcnt(0)
	v_cndmask_b32_e64 v7, 0, v7, s[4:5]
	v_add_u32_e32 v6, v7, v6
	ds_bpermute_b32 v7, v3, v6
	s_and_saveexec_b64 s[26:27], s[8:9]
	s_cbranch_execz .LBB8_49
; %bb.53:                               ;   in Loop: Header=BB8_50 Depth=1
	s_waitcnt lgkmcnt(0)
	v_cndmask_b32_e64 v7, 0, v7, s[6:7]
	v_add_u32_e32 v6, v7, v6
	ds_write_b32 v5, v6 offset:8
	s_branch .LBB8_49
.LBB8_54:
	v_add_u32_e32 v1, s35, v12
	v_subrev_u32_e32 v1, 63, v1
	v_cmp_eq_u32_e32 vcc, s25, v1
	s_and_saveexec_b64 s[4:5], vcc
	s_cbranch_execz .LBB8_56
; %bb.55:
	v_mov_b32_e32 v1, 0
	v_mov_b32_e32 v3, s24
	global_store_dwordx2 v1, v[2:3], s[18:19]
.LBB8_56:
	s_or_b64 exec, exec, s[4:5]
.LBB8_57:
	s_cmp_eq_u64 s[22:23], 0
	s_barrier
	s_cbranch_scc1 .LBB8_64
; %bb.58:
	s_mul_i32 s18, s40, s24
	v_cmp_gt_i32_e32 vcc, s18, v0
	s_and_saveexec_b64 s[6:7], vcc
	s_cbranch_execz .LBB8_63
; %bb.59:
	v_lshlrev_b32_e32 v1, 2, v0
	v_mov_b32_e32 v3, s29
	v_add_co_u32_e32 v2, vcc, s28, v1
	v_addc_co_u32_e32 v3, vcc, 0, v3, vcc
	v_mov_b32_e32 v5, s23
	v_add_co_u32_e32 v4, vcc, s22, v1
	v_addc_co_u32_e32 v5, vcc, 0, v5, vcc
	s_mov_b64 s[8:9], 0
	v_mov_b32_e32 v1, s11
	v_mov_b32_e32 v13, v0
	s_branch .LBB8_61
.LBB8_60:                               ;   in Loop: Header=BB8_61 Depth=1
	s_or_b64 exec, exec, s[4:5]
	v_add_co_u32_e32 v2, vcc, 0x400, v2
	v_add_u32_e32 v13, 0x100, v13
	v_addc_co_u32_e32 v3, vcc, 0, v3, vcc
	s_waitcnt lgkmcnt(0)
	global_store_dword v[4:5], v7, off
	v_add_co_u32_e32 v4, vcc, 0x400, v4
	v_cmp_le_i32_e64 s[4:5], s18, v13
	s_or_b64 s[8:9], s[4:5], s[8:9]
	v_addc_co_u32_e32 v5, vcc, 0, v5, vcc
	s_andn2_b64 exec, exec, s[8:9]
	s_cbranch_execz .LBB8_63
.LBB8_61:                               ; =>This Inner Loop Header: Depth=1
	global_load_dword v6, v[2:3], off
	s_waitcnt vmcnt(0)
	v_ashrrev_i32_e32 v7, 31, v6
	v_lshlrev_b64 v[14:15], 2, v[6:7]
	v_add_co_u32_e32 v14, vcc, s10, v14
	v_addc_co_u32_e32 v15, vcc, v1, v15, vcc
	global_load_dword v7, v[14:15], off
	s_waitcnt vmcnt(0)
	v_cmp_ne_u32_e32 vcc, 0, v7
	v_mov_b32_e32 v7, -1
	s_and_saveexec_b64 s[4:5], vcc
	s_cbranch_execz .LBB8_60
; %bb.62:                               ;   in Loop: Header=BB8_61 Depth=1
	v_lshl_add_u32 v6, v6, 2, s36
	ds_read_b32 v7, v6
	s_branch .LBB8_60
.LBB8_63:
	s_or_b64 exec, exec, s[6:7]
	s_barrier
.LBB8_64:
	s_and_saveexec_b64 s[6:7], s[2:3]
	s_cbranch_execz .LBB8_71
; %bb.65:
	s_mov_b64 s[8:9], 0
	v_mov_b32_e32 v3, 0
	v_mov_b32_e32 v4, v0
	s_branch .LBB8_67
.LBB8_66:                               ;   in Loop: Header=BB8_67 Depth=1
	s_or_b64 exec, exec, s[18:19]
	v_add_u32_e32 v4, 0x100, v4
	v_cmp_le_i32_e32 vcc, s25, v4
	s_or_b64 s[8:9], vcc, s[8:9]
	s_andn2_b64 exec, exec, s[8:9]
	s_cbranch_execz .LBB8_71
.LBB8_67:                               ; =>This Loop Header: Depth=1
                                        ;     Child Loop BB8_70 Depth 2
	s_waitcnt lgkmcnt(1)
	v_lshlrev_b32_e32 v1, 2, v4
	v_add_u32_e32 v2, 0, v1
	ds_read2_b32 v[6:7], v2 offset1:1
	v_add_u32_e32 v2, s36, v1
	ds_read_b32 v1, v2
	s_waitcnt lgkmcnt(1)
	v_cmp_ne_u32_e32 vcc, v6, v7
	ds_write_b32 v2, v6
	s_and_saveexec_b64 s[18:19], vcc
	s_cbranch_execz .LBB8_66
; %bb.68:                               ;   in Loop: Header=BB8_67 Depth=1
	v_mov_b32_e32 v5, v3
	v_lshlrev_b64 v[14:15], 2, v[4:5]
	v_mov_b32_e32 v2, s11
	v_add_co_u32_e32 v14, vcc, s10, v14
	v_addc_co_u32_e32 v15, vcc, v2, v15, vcc
	global_load_dword v2, v[14:15], off
	v_cmp_lt_i32_e64 s[4:5], v6, v7
	s_waitcnt vmcnt(0)
	v_cmp_ne_u32_e32 vcc, 0, v2
	s_and_b64 s[4:5], s[4:5], vcc
	s_and_b64 exec, exec, s[4:5]
	s_cbranch_execz .LBB8_66
; %bb.69:                               ;   in Loop: Header=BB8_67 Depth=1
	s_mov_b64 s[4:5], 0
.LBB8_70:                               ;   Parent Loop BB8_67 Depth=1
                                        ; =>  This Inner Loop Header: Depth=2
	v_mul_hi_u32 v2, s38, v6
	v_add_u32_e32 v2, v6, v2
	v_add_u32_e32 v6, s37, v6
	v_lshrrev_b32_e32 v2, s39, v2
	v_cmp_ge_i32_e32 vcc, v6, v7
	v_lshlrev_b64 v[14:15], 2, v[2:3]
	v_mov_b32_e32 v5, s17
	s_or_b64 s[4:5], vcc, s[4:5]
	v_add_co_u32_e32 v14, vcc, s16, v14
	v_addc_co_u32_e32 v15, vcc, v5, v15, vcc
	s_waitcnt lgkmcnt(1)
	global_store_dword v[14:15], v1, off
	s_andn2_b64 exec, exec, s[4:5]
	s_cbranch_execnz .LBB8_70
	s_branch .LBB8_66
.LBB8_71:
	s_or_b64 exec, exec, s[6:7]
	s_waitcnt lgkmcnt(1)
	v_mov_b32_e32 v1, s42
	s_waitcnt lgkmcnt(0)
	s_barrier
	ds_read_b32 v1, v1
	s_add_i32 s4, s42, s41
	v_mov_b32_e32 v2, s4
	s_andn2_b64 vcc, exec, s[20:21]
	s_waitcnt lgkmcnt(0)
	ds_write_b32 v2, v1 offset:4
	s_cbranch_vccnz .LBB8_85
; %bb.72:
	s_add_u32 s29, s12, -4
	s_addc_u32 s35, s13, -1
	s_add_u32 s30, s30, -4
	s_addc_u32 s31, s31, -1
	;; [unrolled: 2-line block ×3, first 2 shown]
	s_lshl_b32 s6, s25, 3
	v_and_b32_e32 v1, 8, v12
	v_add3_u32 v2, v10, s6, v11
	s_lshl_b32 s41, s25, 5
	v_cmp_gt_i32_e32 vcc, s33, v9
	s_mov_b32 s28, 0
	v_cmp_eq_u32_e64 s[4:5], 0, v1
	v_lshl_or_b32 v1, v0, 2, 28
	v_mul_lo_u32 v4, s40, v9
	s_lshl_b32 s39, s40, 3
	v_add3_u32 v5, v2, 0, 8
	s_add_i32 s41, s41, 32
	v_mov_b32_e32 v3, 0
	s_mov_b32 s42, 0x4020100
	s_branch .LBB8_74
.LBB8_73:                               ;   in Loop: Header=BB8_74 Depth=1
	s_or_b64 exec, exec, s[16:17]
	s_add_i32 s28, s28, s33
	s_cmp_ge_i32 s28, s24
	v_add_u32_e32 v4, s34, v4
	s_waitcnt lgkmcnt(0)
	s_barrier
	s_cbranch_scc1 .LBB8_85
.LBB8_74:                               ; =>This Loop Header: Depth=1
                                        ;     Child Loop BB8_79 Depth 2
                                        ;       Child Loop BB8_83 Depth 3
	s_and_saveexec_b64 s[16:17], s[0:1]
	s_cbranch_execz .LBB8_73
; %bb.75:                               ;   in Loop: Header=BB8_74 Depth=1
	s_mov_b64 s[18:19], 0
	v_mov_b32_e32 v6, v5
	v_mov_b32_e32 v2, v8
	s_branch .LBB8_79
.LBB8_76:                               ;   in Loop: Header=BB8_79 Depth=2
	s_or_b64 exec, exec, s[26:27]
.LBB8_77:                               ;   in Loop: Header=BB8_79 Depth=2
	s_or_b64 exec, exec, s[22:23]
	s_waitcnt lgkmcnt(0)
	ds_write_b32 v7, v10
.LBB8_78:                               ;   in Loop: Header=BB8_79 Depth=2
	s_or_b64 exec, exec, s[20:21]
	v_add_u32_e32 v2, 32, v2
	v_cmp_le_i32_e64 s[6:7], s25, v2
	s_or_b64 s[18:19], s[6:7], s[18:19]
	v_add_u32_e32 v6, 0x80, v6
	s_andn2_b64 exec, exec, s[18:19]
	s_cbranch_execz .LBB8_73
.LBB8_79:                               ;   Parent Loop BB8_74 Depth=1
                                        ; =>  This Loop Header: Depth=2
                                        ;       Child Loop BB8_83 Depth 3
	v_lshlrev_b64 v[10:11], 2, v[2:3]
	v_mov_b32_e32 v7, s11
	v_add_co_u32_e64 v10, s[6:7], s10, v10
	v_addc_co_u32_e64 v11, s[6:7], v7, v11, s[6:7]
	global_load_dword v7, v[10:11], off
	s_waitcnt vmcnt(0)
	v_cmp_ne_u32_e64 s[6:7], 0, v7
	s_and_saveexec_b64 s[20:21], s[6:7]
	s_cbranch_execz .LBB8_78
; %bb.80:                               ;   in Loop: Header=BB8_79 Depth=2
	v_lshl_add_u32 v7, v2, 2, 0
	ds_read_b32 v10, v7
	s_and_saveexec_b64 s[22:23], vcc
	s_cbranch_execz .LBB8_77
; %bb.81:                               ;   in Loop: Header=BB8_79 Depth=2
	s_mov_b64 s[26:27], 0
	v_mov_b32_e32 v11, v6
	v_mov_b32_e32 v12, v4
	;; [unrolled: 1-line block ×3, first 2 shown]
	s_branch .LBB8_83
.LBB8_82:                               ;   in Loop: Header=BB8_83 Depth=3
	s_or_b64 exec, exec, s[8:9]
	ds_bpermute_b32 v14, v1, v14
	v_add_u32_e32 v13, 8, v13
	v_cmp_le_i32_e64 s[6:7], s33, v13
	v_add_u32_e32 v12, s39, v12
	s_or_b64 s[26:27], s[6:7], s[26:27]
	s_waitcnt lgkmcnt(0)
	v_add_u32_e32 v10, v14, v10
	v_add_u32_e32 v11, s41, v11
	s_andn2_b64 exec, exec, s[26:27]
	s_cbranch_execz .LBB8_76
.LBB8_83:                               ;   Parent Loop BB8_74 Depth=1
                                        ;     Parent Loop BB8_79 Depth=2
                                        ; =>    This Inner Loop Header: Depth=3
	ds_read_b32 v15, v11
	s_waitcnt lgkmcnt(0)
	v_cmp_ne_u32_e64 s[6:7], 0, v15
	v_cndmask_b32_e64 v14, 0, 1, s[6:7]
	s_nop 1
	v_mov_b32_dpp v14, v14 row_shr:1 row_mask:0xf bank_mask:0xf bound_ctrl:1
	v_addc_co_u32_e64 v16, s[8:9], 0, v14, s[6:7]
	s_nop 1
	v_mov_b32_dpp v16, v16 row_shr:2 row_mask:0xf bank_mask:0xf bound_ctrl:1
	v_addc_co_u32_e64 v14, s[8:9], v16, v14, s[6:7]
	s_nop 1
	v_add_u32_dpp v14, v14, v14 row_shr:4 row_mask:0xf bank_mask:0xf bound_ctrl:1
	s_nop 1
	v_add_u32_dpp v14, v14, v14 row_shr:8 row_mask:0xf bank_mask:0xf bound_ctrl:1
	s_nop 1
	v_mov_b32_dpp v16, v14 row_newbcast:7 row_mask:0xf bank_mask:0xf bound_ctrl:1
	v_cndmask_b32_e64 v16, v16, 0, s[4:5]
	v_sub_u32_e32 v14, v14, v16
	s_and_saveexec_b64 s[8:9], s[6:7]
	s_cbranch_execz .LBB8_82
; %bb.84:                               ;   in Loop: Header=BB8_83 Depth=3
	v_add_u32_e32 v16, v12, v15
	v_ashrrev_i32_e32 v17, 31, v16
	v_lshlrev_b64 v[16:17], 2, v[16:17]
	v_mov_b32_e32 v18, s31
	v_add_co_u32_e64 v16, s[6:7], s30, v16
	v_addc_co_u32_e64 v17, s[6:7], v18, v17, s[6:7]
	global_load_dword v20, v[16:17], off
	v_add_u32_e32 v16, s28, v13
	v_perm_b32 v15, v15, v16, s42
	v_add_u32_e32 v16, v14, v10
	v_ashrrev_i32_e32 v17, 31, v16
	v_lshlrev_b64 v[16:17], 2, v[16:17]
	v_mov_b32_e32 v19, s35
	v_add_co_u32_e64 v18, s[6:7], s29, v16
	v_add_u32_e32 v15, 0xff000000, v15
	v_addc_co_u32_e64 v19, s[6:7], v19, v17, s[6:7]
	global_store_dword v[18:19], v15, off
	v_mov_b32_e32 v15, s38
	v_add_co_u32_e64 v16, s[6:7], s37, v16
	v_addc_co_u32_e64 v17, s[6:7], v15, v17, s[6:7]
	s_waitcnt vmcnt(1)
	global_store_dword v[16:17], v20, off
	s_branch .LBB8_82
.LBB8_85:
	s_and_saveexec_b64 s[0:1], s[2:3]
	s_cbranch_execz .LBB8_96
; %bb.86:
	s_and_b32 s0, s24, 0xffffff
	s_lshl_b32 s1, s40, 24
	s_or_b32 s4, s1, s0
	s_mov_b32 s5, s4
	s_add_i32 s36, s36, 4
	s_mov_b64 s[2:3], 0
	s_mov_b32 s8, 0
	v_mov_b32_e32 v1, 0
	s_branch .LBB8_88
.LBB8_87:                               ;   in Loop: Header=BB8_88 Depth=1
	s_or_b64 exec, exec, s[16:17]
	v_add_u32_e32 v0, 0x100, v0
	v_cmp_le_i32_e32 vcc, s25, v0
	s_or_b64 s[2:3], vcc, s[2:3]
	s_andn2_b64 exec, exec, s[2:3]
	s_cbranch_execz .LBB8_96
.LBB8_88:                               ; =>This Loop Header: Depth=1
                                        ;     Child Loop BB8_91 Depth 2
                                        ;     Child Loop BB8_95 Depth 2
	v_lshlrev_b32_e32 v2, 2, v0
	v_add_u32_e32 v3, 0, v2
	v_add_u32_e32 v4, s36, v2
	ds_read_b32 v2, v3
	ds_read_b32 v8, v4
	s_waitcnt lgkmcnt(0)
	v_cmp_gt_i32_e32 vcc, v8, v2
	s_and_saveexec_b64 s[16:17], vcc
	s_cbranch_execz .LBB8_87
; %bb.89:                               ;   in Loop: Header=BB8_88 Depth=1
	v_sub_u32_e32 v3, v8, v2
	v_cmp_lt_u32_e32 vcc, 15, v3
	s_mov_b64 s[6:7], -1
	s_and_saveexec_b64 s[0:1], vcc
	s_cbranch_execz .LBB8_93
; %bb.90:                               ;   in Loop: Header=BB8_88 Depth=1
	v_and_b32_e32 v6, -16, v3
	s_mov_b64 s[18:19], 0
	v_mov_b32_e32 v4, v2
	v_mov_b32_e32 v7, v6
.LBB8_91:                               ;   Parent Loop BB8_88 Depth=1
                                        ; =>  This Inner Loop Header: Depth=2
	v_ashrrev_i32_e32 v5, 31, v4
	v_lshlrev_b64 v[14:15], 2, v[4:5]
	v_mov_b32_e32 v5, s13
	v_add_co_u32_e32 v16, vcc, s12, v14
	v_addc_co_u32_e32 v17, vcc, v5, v15, vcc
	s_mov_b32 s6, s4
	s_mov_b32 s7, s5
	v_pk_mov_b32 v[12:13], s[6:7], s[6:7] op_sel:[0,1]
	v_mov_b32_e32 v5, s15
	v_add_co_u32_e32 v14, vcc, s14, v14
	v_pk_mov_b32 v[10:11], s[4:5], s[4:5] op_sel:[0,1]
	v_addc_co_u32_e32 v15, vcc, v5, v15, vcc
	s_mov_b32 s10, s8
	s_mov_b32 s11, s8
	v_add_u32_e32 v7, -16, v7
	global_store_dwordx4 v[16:17], v[10:13], off
	global_store_dwordx4 v[16:17], v[10:13], off offset:16
	global_store_dwordx4 v[16:17], v[10:13], off offset:32
	;; [unrolled: 1-line block ×3, first 2 shown]
	s_mov_b32 s9, s8
	v_pk_mov_b32 v[12:13], s[10:11], s[10:11] op_sel:[0,1]
	v_cmp_eq_u32_e32 vcc, 0, v7
	v_pk_mov_b32 v[10:11], s[8:9], s[8:9] op_sel:[0,1]
	s_or_b64 s[18:19], vcc, s[18:19]
	v_add_u32_e32 v4, 16, v4
	global_store_dwordx4 v[14:15], v[10:13], off
	global_store_dwordx4 v[14:15], v[10:13], off offset:16
	global_store_dwordx4 v[14:15], v[10:13], off offset:32
	;; [unrolled: 1-line block ×3, first 2 shown]
	s_andn2_b64 exec, exec, s[18:19]
	s_cbranch_execnz .LBB8_91
; %bb.92:                               ;   in Loop: Header=BB8_88 Depth=1
	s_or_b64 exec, exec, s[18:19]
	v_cmp_ne_u32_e32 vcc, v3, v6
	v_add_u32_e32 v2, v2, v6
	s_orn2_b64 s[6:7], vcc, exec
.LBB8_93:                               ;   in Loop: Header=BB8_88 Depth=1
	s_or_b64 exec, exec, s[0:1]
	s_and_b64 exec, exec, s[6:7]
	s_cbranch_execz .LBB8_87
; %bb.94:                               ;   in Loop: Header=BB8_88 Depth=1
	v_ashrrev_i32_e32 v3, 31, v2
	v_lshlrev_b64 v[6:7], 2, v[2:3]
	v_mov_b32_e32 v3, s13
	v_add_co_u32_e32 v4, vcc, s12, v6
	v_addc_co_u32_e32 v5, vcc, v3, v7, vcc
	v_mov_b32_e32 v3, s15
	v_add_co_u32_e32 v6, vcc, s14, v6
	v_addc_co_u32_e32 v7, vcc, v3, v7, vcc
	s_mov_b64 s[6:7], 0
.LBB8_95:                               ;   Parent Loop BB8_88 Depth=1
                                        ; =>  This Inner Loop Header: Depth=2
	global_store_dword v[6:7], v1, off
	v_add_co_u32_e32 v6, vcc, 4, v6
	v_mov_b32_e32 v3, s4
	v_add_u32_e32 v2, 1, v2
	v_addc_co_u32_e32 v7, vcc, 0, v7, vcc
	global_store_dword v[4:5], v3, off
	v_cmp_ge_i32_e32 vcc, v2, v8
	v_add_co_u32_e64 v4, s[0:1], 4, v4
	s_or_b64 s[6:7], vcc, s[6:7]
	v_addc_co_u32_e64 v5, vcc, 0, v5, s[0:1]
	s_andn2_b64 exec, exec, s[6:7]
	s_cbranch_execnz .LBB8_95
	s_branch .LBB8_87
.LBB8_96:
	s_endpgm
	.section	.rodata,"a",@progbits
	.p2align	6, 0x0
	.amdhsa_kernel _ZN5aiter22opus_moe_sorting_entryINS_16MoeSortingKernelINS_19MoeSortingProblemExIifLi1ELb1ELb1ELb0ELb1ELi0EEEEENS4_5KargsEEEvT0_
		.amdhsa_group_segment_fixed_size 0
		.amdhsa_private_segment_fixed_size 0
		.amdhsa_kernarg_size 400
		.amdhsa_user_sgpr_count 6
		.amdhsa_user_sgpr_private_segment_buffer 1
		.amdhsa_user_sgpr_dispatch_ptr 0
		.amdhsa_user_sgpr_queue_ptr 0
		.amdhsa_user_sgpr_kernarg_segment_ptr 1
		.amdhsa_user_sgpr_dispatch_id 0
		.amdhsa_user_sgpr_flat_scratch_init 0
		.amdhsa_user_sgpr_kernarg_preload_length 0
		.amdhsa_user_sgpr_kernarg_preload_offset 0
		.amdhsa_user_sgpr_private_segment_size 0
		.amdhsa_uses_dynamic_stack 0
		.amdhsa_system_sgpr_private_segment_wavefront_offset 0
		.amdhsa_system_sgpr_workgroup_id_x 1
		.amdhsa_system_sgpr_workgroup_id_y 0
		.amdhsa_system_sgpr_workgroup_id_z 0
		.amdhsa_system_sgpr_workgroup_info 0
		.amdhsa_system_vgpr_workitem_id 0
		.amdhsa_next_free_vgpr 21
		.amdhsa_next_free_sgpr 46
		.amdhsa_accum_offset 24
		.amdhsa_reserve_vcc 1
		.amdhsa_reserve_flat_scratch 0
		.amdhsa_float_round_mode_32 0
		.amdhsa_float_round_mode_16_64 0
		.amdhsa_float_denorm_mode_32 3
		.amdhsa_float_denorm_mode_16_64 3
		.amdhsa_dx10_clamp 1
		.amdhsa_ieee_mode 1
		.amdhsa_fp16_overflow 0
		.amdhsa_tg_split 0
		.amdhsa_exception_fp_ieee_invalid_op 0
		.amdhsa_exception_fp_denorm_src 0
		.amdhsa_exception_fp_ieee_div_zero 0
		.amdhsa_exception_fp_ieee_overflow 0
		.amdhsa_exception_fp_ieee_underflow 0
		.amdhsa_exception_fp_ieee_inexact 0
		.amdhsa_exception_int_div_zero 0
	.end_amdhsa_kernel
	.section	.text._ZN5aiter22opus_moe_sorting_entryINS_16MoeSortingKernelINS_19MoeSortingProblemExIifLi1ELb1ELb1ELb0ELb1ELi0EEEEENS4_5KargsEEEvT0_,"axG",@progbits,_ZN5aiter22opus_moe_sorting_entryINS_16MoeSortingKernelINS_19MoeSortingProblemExIifLi1ELb1ELb1ELb0ELb1ELi0EEEEENS4_5KargsEEEvT0_,comdat
.Lfunc_end8:
	.size	_ZN5aiter22opus_moe_sorting_entryINS_16MoeSortingKernelINS_19MoeSortingProblemExIifLi1ELb1ELb1ELb0ELb1ELi0EEEEENS4_5KargsEEEvT0_, .Lfunc_end8-_ZN5aiter22opus_moe_sorting_entryINS_16MoeSortingKernelINS_19MoeSortingProblemExIifLi1ELb1ELb1ELb0ELb1ELi0EEEEENS4_5KargsEEEvT0_
                                        ; -- End function
	.section	.AMDGPU.csdata,"",@progbits
; Kernel info:
; codeLenInByte = 4052
; NumSgprs: 50
; NumVgprs: 21
; NumAgprs: 0
; TotalNumVgprs: 21
; ScratchSize: 0
; MemoryBound: 0
; FloatMode: 240
; IeeeMode: 1
; LDSByteSize: 0 bytes/workgroup (compile time only)
; SGPRBlocks: 6
; VGPRBlocks: 2
; NumSGPRsForWavesPerEU: 50
; NumVGPRsForWavesPerEU: 21
; AccumOffset: 24
; Occupancy: 8
; WaveLimiterHint : 1
; COMPUTE_PGM_RSRC2:SCRATCH_EN: 0
; COMPUTE_PGM_RSRC2:USER_SGPR: 6
; COMPUTE_PGM_RSRC2:TRAP_HANDLER: 0
; COMPUTE_PGM_RSRC2:TGID_X_EN: 1
; COMPUTE_PGM_RSRC2:TGID_Y_EN: 0
; COMPUTE_PGM_RSRC2:TGID_Z_EN: 0
; COMPUTE_PGM_RSRC2:TIDIG_COMP_CNT: 0
; COMPUTE_PGM_RSRC3_GFX90A:ACCUM_OFFSET: 5
; COMPUTE_PGM_RSRC3_GFX90A:TG_SPLIT: 0
	.section	.text._ZN5aiter22opus_moe_sorting_entryINS_16MoeSortingKernelINS_19MoeSortingProblemExIifLi8ELb0ELb1ELb1ELb1ELi0EEEEENS4_5KargsEEEvT0_,"axG",@progbits,_ZN5aiter22opus_moe_sorting_entryINS_16MoeSortingKernelINS_19MoeSortingProblemExIifLi8ELb0ELb1ELb1ELb1ELi0EEEEENS4_5KargsEEEvT0_,comdat
	.protected	_ZN5aiter22opus_moe_sorting_entryINS_16MoeSortingKernelINS_19MoeSortingProblemExIifLi8ELb0ELb1ELb1ELb1ELi0EEEEENS4_5KargsEEEvT0_ ; -- Begin function _ZN5aiter22opus_moe_sorting_entryINS_16MoeSortingKernelINS_19MoeSortingProblemExIifLi8ELb0ELb1ELb1ELb1ELi0EEEEENS4_5KargsEEEvT0_
	.globl	_ZN5aiter22opus_moe_sorting_entryINS_16MoeSortingKernelINS_19MoeSortingProblemExIifLi8ELb0ELb1ELb1ELb1ELi0EEEEENS4_5KargsEEEvT0_
	.p2align	8
	.type	_ZN5aiter22opus_moe_sorting_entryINS_16MoeSortingKernelINS_19MoeSortingProblemExIifLi8ELb0ELb1ELb1ELb1ELi0EEEEENS4_5KargsEEEvT0_,@function
_ZN5aiter22opus_moe_sorting_entryINS_16MoeSortingKernelINS_19MoeSortingProblemExIifLi8ELb0ELb1ELb1ELb1ELi0EEEEENS4_5KargsEEEvT0_: ; @_ZN5aiter22opus_moe_sorting_entryINS_16MoeSortingKernelINS_19MoeSortingProblemExIifLi8ELb0ELb1ELb1ELb1ELi0EEEEENS4_5KargsEEEvT0_
; %bb.0:
	s_load_dwordx16 s[36:51], s[4:5], 0x0
	s_load_dwordx4 s[12:15], s[4:5], 0x40
	s_load_dwordx4 s[24:27], s[4:5], 0x54
	s_cmp_eq_u32 s6, 0
	s_waitcnt lgkmcnt(0)
	s_load_dword s33, s[42:43], 0x0
	s_cbranch_scc1 .LBB9_7
; %bb.1:
	s_cmp_eq_u64 s[12:13], 0
	s_mov_b64 s[2:3], 0
	s_cbranch_scc1 .LBB9_6
; %bb.2:
	s_waitcnt lgkmcnt(0)
	s_ashr_i32 s0, s33, 31
	s_mul_i32 s7, s26, s25
	s_mul_hi_i32 s1, s26, s25
	s_mul_i32 s0, s7, s0
	s_mul_hi_u32 s8, s7, s33
	s_add_i32 s0, s8, s0
	s_mul_i32 s1, s1, s33
	s_add_i32 s1, s0, s1
	s_mul_i32 s0, s7, s33
	s_ashr_i32 s7, s1, 31
	s_lshr_b32 s8, s7, 28
	s_add_u32 s0, s0, s8
	s_addc_u32 s1, s1, 0
	v_lshl_add_u32 v1, s6, 8, v0
	s_ashr_i64 s[8:9], s[0:1], 4
	v_add_u32_e32 v2, 0xffffff00, v1
	v_mov_b32_e32 v3, 0
	s_mov_b32 s7, 0
	v_cmp_gt_i64_e32 vcc, s[8:9], v[2:3]
	s_and_saveexec_b64 s[10:11], vcc
	s_cbranch_execz .LBB9_5
; %bb.3:
	s_load_dword s0, s[4:5], 0x90
	v_lshlrev_b64 v[4:5], 4, v[2:3]
	v_mov_b32_e32 v1, s13
	v_add_co_u32_e32 v8, vcc, s12, v4
	s_waitcnt lgkmcnt(0)
	s_lshl_b32 s0, s0, 8
	s_add_i32 s6, s0, 0xffffff00
	s_lshl_b64 s[12:13], s[6:7], 4
	v_pk_mov_b32 v[6:7], v[2:3], v[2:3] op_sel:[0,1]
	v_addc_co_u32_e32 v9, vcc, v1, v5, vcc
	s_mov_b64 s[16:17], 0
	v_mov_b32_e32 v2, v3
	v_mov_b32_e32 v4, v3
	;; [unrolled: 1-line block ×5, first 2 shown]
.LBB9_4:                                ; =>This Inner Loop Header: Depth=1
	v_add_co_u32_e32 v6, vcc, s6, v6
	v_addc_co_u32_e32 v7, vcc, v7, v1, vcc
	global_store_dwordx4 v[8:9], v[2:5], off
	v_add_co_u32_e32 v8, vcc, s12, v8
	v_cmp_le_i64_e64 s[0:1], s[8:9], v[6:7]
	s_or_b64 s[16:17], s[0:1], s[16:17]
	v_addc_co_u32_e32 v9, vcc, v9, v10, vcc
	s_andn2_b64 exec, exec, s[16:17]
	s_cbranch_execnz .LBB9_4
.LBB9_5:
	s_or_b64 exec, exec, s[10:11]
.LBB9_6:
	s_andn2_b64 vcc, exec, s[2:3]
	s_cbranch_vccz .LBB9_8
	s_branch .LBB9_111
.LBB9_7:
.LBB9_8:
	s_load_dwordx8 s[16:23], s[4:5], 0x64
	s_load_dwordx2 s[26:27], s[4:5], 0x84
	v_lshrrev_b32_e32 v1, 6, v0
	s_add_i32 s25, s24, 1
	v_readfirstlane_b32 s30, v1
	s_waitcnt lgkmcnt(0)
	s_add_i32 s52, s16, -2
	s_mul_i32 s53, s52, s24
	v_cmp_gt_i32_e64 s[0:1], s53, v0
	v_xad_u32 v8, v0, -1, s53
	s_and_saveexec_b64 s[2:3], s[0:1]
	s_cbranch_execz .LBB9_18
; %bb.9:
	s_movk_i32 s6, 0xff
	s_mov_b32 s5, 0
	s_mov_b32 s4, s26
	s_sub_i32 s10, s25, s23
	v_cmp_lt_u32_e32 vcc, s6, v8
	s_mov_b64 s[8:9], 0
                                        ; implicit-def: $vgpr1
                                        ; implicit-def: $sgpr11
	s_and_saveexec_b64 s[6:7], vcc
	s_xor_b64 s[6:7], exec, s[6:7]
	s_cbranch_execnz .LBB9_12
; %bb.10:
	s_or_saveexec_b64 s[6:7], s[6:7]
	v_mov_b32_e32 v2, s11
	s_xor_b64 exec, exec, s[6:7]
	s_cbranch_execnz .LBB9_15
.LBB9_11:
	s_or_b64 exec, exec, s[6:7]
	s_and_b64 exec, exec, s[8:9]
	s_cbranch_execnz .LBB9_16
	s_branch .LBB9_18
.LBB9_12:
	v_lshrrev_b32_e32 v1, 8, v8
	v_add_u32_e32 v4, 1, v1
	s_lshl_b32 s11, s24, 3
	v_and_b32_e32 v5, 0x1fffffe, v4
	v_add_u32_e32 v1, 0x100, v0
	s_add_i32 s8, s11, 0
	s_mov_b32 s12, s4
	s_mov_b32 s13, s27
	;; [unrolled: 1-line block ×4, first 2 shown]
	v_lshl_add_u32 v6, v0, 2, s8
	s_mov_b64 s[8:9], 0
	v_mov_b32_e32 v7, 0
	v_mov_b32_e32 v9, v5
	v_pk_mov_b32 v[2:3], v[0:1], v[0:1] op_sel:[0,1]
.LBB9_13:                               ; =>This Inner Loop Header: Depth=1
	v_mul_hi_u32 v1, s4, v2
	v_mul_hi_u32 v10, s12, v3
	v_add_u32_e32 v10, v3, v10
	v_add_u32_e32 v1, v2, v1
	v_add_u32_e32 v9, -2, v9
	v_lshrrev_b32_e32 v1, s13, v1
	v_lshrrev_b32_e32 v10, s28, v10
	v_cmp_eq_u32_e32 vcc, 0, v9
	v_mul_lo_u32 v10, v10, s29
	v_mul_lo_u32 v1, v1, s10
	v_add_u32_e32 v3, 0x200, v3
	v_add_u32_e32 v2, 0x200, v2
	s_or_b64 s[8:9], vcc, s[8:9]
	v_lshl_add_u32 v1, v1, 2, v6
	v_lshl_add_u32 v10, v10, 2, v6
	v_add_u32_e32 v6, 0x800, v6
	ds_write_b32 v1, v7 offset:8
	ds_write_b32 v10, v7 offset:1032
	s_andn2_b64 exec, exec, s[8:9]
	s_cbranch_execnz .LBB9_13
; %bb.14:
	s_or_b64 exec, exec, s[8:9]
	v_cmp_ne_u32_e32 vcc, v4, v5
	v_lshl_add_u32 v1, v5, 8, v0
	s_and_b64 s[8:9], vcc, exec
	s_or_saveexec_b64 s[6:7], s[6:7]
	v_mov_b32_e32 v2, s11
	s_xor_b64 exec, exec, s[6:7]
	s_cbranch_execz .LBB9_11
.LBB9_15:
	s_lshl_b32 s11, s24, 3
	v_mov_b32_e32 v2, s11
	s_or_b64 s[8:9], s[8:9], exec
	v_mov_b32_e32 v1, v0
	s_or_b64 exec, exec, s[6:7]
	s_and_b64 exec, exec, s[8:9]
	s_cbranch_execz .LBB9_18
.LBB9_16:
	v_lshl_add_u32 v2, v1, 2, v2
	v_mad_u64_u32 v[4:5], s[6:7], v1, s4, 0
	s_lshl_b64 s[4:5], s[4:5], 8
	s_lshl_b32 s8, s10, 2
	v_add3_u32 v2, v2, 0, 8
	s_mov_b64 s[6:7], 0
	v_mov_b32_e32 v3, 0
	v_mov_b32_e32 v6, s5
.LBB9_17:                               ; =>This Inner Loop Header: Depth=1
	v_add_co_u32_e32 v4, vcc, s4, v4
	v_add_u32_e32 v7, v1, v5
	v_add_u32_e32 v1, 0x100, v1
	v_addc_co_u32_e32 v5, vcc, v5, v6, vcc
	v_lshrrev_b32_e32 v7, s27, v7
	v_cmp_le_i32_e32 vcc, s53, v1
	v_mad_u64_u32 v[10:11], s[10:11], s8, v7, v[2:3]
	v_add_u32_e32 v2, 0x400, v2
	s_or_b64 s[6:7], vcc, s[6:7]
	ds_write_b32 v10, v3
	s_andn2_b64 exec, exec, s[6:7]
	s_cbranch_execnz .LBB9_17
.LBB9_18:
	s_or_b64 exec, exec, s[2:3]
	s_lshl_b32 s2, s25, 3
	s_add_i32 s54, s2, 0
	s_cmp_gt_i32 s33, 0
	s_mul_i32 s55, s20, s52
	s_mov_b32 s5, 0
	s_cselect_b64 s[12:13], -1, 0
	s_cmp_lt_i32 s33, 1
	v_cmp_gt_i32_e32 vcc, s55, v0
	s_waitcnt lgkmcnt(0)
	s_barrier
	s_cbranch_scc1 .LBB9_26
; %bb.19:
	s_mov_b32 s4, s21
	v_mad_u64_u32 v[2:3], s[2:3], v0, s21, 0
	s_lshl_b64 s[6:7], s[4:5], 8
	v_mov_b32_e32 v5, 0
	s_mov_b32 s4, 0
	s_branch .LBB9_21
.LBB9_20:                               ;   in Loop: Header=BB9_21 Depth=1
	s_or_b64 exec, exec, s[8:9]
	s_add_i32 s4, s4, s52
	s_add_i32 s5, s5, s55
	s_cmp_ge_i32 s4, s33
	s_barrier
	s_cbranch_scc1 .LBB9_26
.LBB9_21:                               ; =>This Loop Header: Depth=1
                                        ;     Child Loop BB9_24 Depth 2
	s_and_saveexec_b64 s[8:9], vcc
	s_cbranch_execz .LBB9_20
; %bb.22:                               ;   in Loop: Header=BB9_21 Depth=1
	s_mov_b64 s[10:11], 0
	v_pk_mov_b32 v[6:7], v[2:3], v[2:3] op_sel:[0,1]
	v_mov_b32_e32 v1, v0
	s_branch .LBB9_24
.LBB9_23:                               ;   in Loop: Header=BB9_24 Depth=2
	s_or_b64 exec, exec, s[28:29]
	v_add_u32_e32 v1, 0x100, v1
	v_cmp_le_i32_e64 s[2:3], s55, v1
	v_mov_b32_e32 v4, s7
	s_or_b64 s[10:11], s[2:3], s[10:11]
	v_add_co_u32_e64 v6, s[2:3], s6, v6
	v_addc_co_u32_e64 v7, s[2:3], v7, v4, s[2:3]
	s_waitcnt lgkmcnt(0)
	s_andn2_b64 exec, exec, s[10:11]
	s_cbranch_execz .LBB9_20
.LBB9_24:                               ;   Parent Loop BB9_21 Depth=1
                                        ; =>  This Inner Loop Header: Depth=2
	v_add_u32_e32 v4, v1, v7
	v_lshrrev_b32_e32 v9, s22, v4
	v_add_u32_e32 v4, s4, v9
	v_cmp_gt_i32_e64 s[2:3], s33, v4
	s_and_saveexec_b64 s[28:29], s[2:3]
	s_cbranch_execz .LBB9_23
; %bb.25:                               ;   in Loop: Header=BB9_24 Depth=2
	v_add_u32_e32 v4, s5, v1
	v_lshlrev_b64 v[10:11], 2, v[4:5]
	v_mov_b32_e32 v4, s37
	v_add_co_u32_e64 v10, s[2:3], s36, v10
	v_addc_co_u32_e64 v11, s[2:3], v4, v11, s[2:3]
	global_load_dword v4, v[10:11], off
	v_mul_lo_u32 v9, v9, s25
	v_lshlrev_b32_e32 v9, 2, v9
	s_waitcnt vmcnt(0)
	v_lshlrev_b32_e32 v4, 2, v4
	v_add3_u32 v4, s54, v4, v9
	ds_read_b32 v9, v4
	s_waitcnt lgkmcnt(0)
	v_add_u32_e32 v9, 1, v9
	ds_write_b32 v4, v9
	s_branch .LBB9_23
.LBB9_26:
	v_cmp_eq_u32_e32 vcc, 0, v0
	s_and_saveexec_b64 s[2:3], vcc
	s_cbranch_execz .LBB9_28
; %bb.27:
	v_mov_b32_e32 v1, 0
	ds_write_b32 v1, v1
.LBB9_28:
	s_or_b64 exec, exec, s[2:3]
	v_mbcnt_lo_u32_b32 v1, -1, 0
	v_and_b32_e32 v15, 7, v0
	v_mbcnt_hi_u32_b32 v9, -1, v1
	v_lshrrev_b32_e32 v14, 3, v0
	v_mul_lo_u32 v1, s25, v15
	v_cmp_gt_i32_e64 s[2:3], s24, v14
	v_lshlrev_b32_e32 v10, 2, v1
	v_lshlrev_b32_e32 v11, 2, v14
	s_and_saveexec_b64 s[8:9], s[2:3]
	s_cbranch_execz .LBB9_36
; %bb.29:
	s_cmp_gt_i32 s16, 2
	s_cselect_b64 s[6:7], -1, 0
	s_lshl_b32 s10, s24, 3
	v_lshlrev_b32_e32 v3, 2, v9
	v_add3_u32 v4, v10, s10, v11
	s_lshl_b32 s16, s24, 8
	s_lshl_b32 s31, s24, 5
	v_cndmask_b32_e64 v5, 0, 1, s[6:7]
	v_xor_b32_e32 v1, 4, v3
	v_xor_b32_e32 v2, 8, v3
	;; [unrolled: 1-line block ×3, first 2 shown]
	v_cmp_eq_u32_e64 s[4:5], 0, v15
	v_add3_u32 v4, v4, 0, 8
	s_addk_i32 s16, 0x100
	s_add_i32 s34, s31, 32
	s_mov_b64 s[10:11], 0
	v_cmp_ne_u32_e64 s[6:7], 1, v5
	v_mov_b32_e32 v5, v14
	s_branch .LBB9_31
.LBB9_30:                               ;   in Loop: Header=BB9_31 Depth=1
	s_or_b64 exec, exec, s[28:29]
	v_add_u32_e32 v5, 32, v5
	v_cmp_le_i32_e32 vcc, s24, v5
	s_or_b64 s[10:11], vcc, s[10:11]
	v_add_u32_e32 v4, 0x80, v4
	s_andn2_b64 exec, exec, s[10:11]
	s_cbranch_execz .LBB9_36
.LBB9_31:                               ; =>This Loop Header: Depth=1
                                        ;     Child Loop BB9_33 Depth 2
	s_and_b64 vcc, exec, s[6:7]
	v_mov_b32_e32 v6, 0
	s_cbranch_vccnz .LBB9_34
; %bb.32:                               ;   in Loop: Header=BB9_31 Depth=1
	s_mov_b32 s28, 0
	v_mov_b32_e32 v6, 0
	v_mov_b32_e32 v7, v4
.LBB9_33:                               ;   Parent Loop BB9_31 Depth=1
                                        ; =>  This Inner Loop Header: Depth=2
	ds_read_b32 v12, v7
	v_add_u32_e32 v13, s31, v7
	v_add_u32_e32 v16, s34, v13
	ds_read_b32 v13, v13 offset:32
	v_add_u32_e32 v17, s34, v16
	ds_read_b32 v16, v16 offset:32
	;; [unrolled: 2-line block ×4, first 2 shown]
	ds_read_b32 v20, v19 offset:32
	v_add_u32_e32 v19, s34, v19
	s_waitcnt lgkmcnt(5)
	ds_bpermute_b32 v21, v1, v12
	ds_read_b32 v22, v19 offset:32
	v_add_u32_e32 v19, s34, v19
	s_waitcnt lgkmcnt(6)
	ds_bpermute_b32 v23, v1, v13
	ds_read_b32 v19, v19 offset:32
	s_waitcnt lgkmcnt(7)
	ds_bpermute_b32 v24, v1, v16
	s_waitcnt lgkmcnt(7)
	ds_bpermute_b32 v25, v1, v17
	;; [unrolled: 2-line block ×3, first 2 shown]
	s_waitcnt lgkmcnt(6)
	v_add_u32_e32 v12, v21, v12
	ds_bpermute_b32 v21, v1, v20
	ds_bpermute_b32 v27, v2, v12
	s_waitcnt lgkmcnt(6)
	v_add_u32_e32 v13, v23, v13
	ds_bpermute_b32 v23, v1, v22
	ds_bpermute_b32 v28, v2, v13
	;; [unrolled: 4-line block ×3, first 2 shown]
	s_waitcnt lgkmcnt(7)
	v_add_u32_e32 v17, v25, v17
	ds_bpermute_b32 v25, v2, v17
	s_waitcnt lgkmcnt(7)
	v_add_u32_e32 v18, v26, v18
	ds_bpermute_b32 v26, v2, v18
	s_waitcnt lgkmcnt(7)
	v_add_u32_e32 v20, v21, v20
	s_waitcnt lgkmcnt(6)
	v_add_u32_e32 v12, v27, v12
	ds_bpermute_b32 v21, v2, v20
	s_waitcnt lgkmcnt(6)
	v_add_u32_e32 v22, v23, v22
	ds_bpermute_b32 v23, v3, v12
	;; [unrolled: 3-line block ×5, first 2 shown]
	ds_bpermute_b32 v29, v3, v16
	s_waitcnt lgkmcnt(7)
	v_add_u32_e32 v17, v25, v17
	ds_bpermute_b32 v25, v3, v17
	s_waitcnt lgkmcnt(7)
	v_add_u32_e32 v18, v26, v18
	;; [unrolled: 3-line block ×3, first 2 shown]
	s_waitcnt lgkmcnt(6)
	v_add3_u32 v6, v12, v6, v23
	ds_bpermute_b32 v12, v3, v20
	s_waitcnt lgkmcnt(6)
	v_add_u32_e32 v21, v27, v22
	s_waitcnt lgkmcnt(5)
	v_add3_u32 v6, v6, v13, v24
	ds_bpermute_b32 v13, v3, v21
	s_waitcnt lgkmcnt(5)
	v_add_u32_e32 v19, v28, v19
	s_waitcnt lgkmcnt(4)
	v_add3_u32 v6, v6, v16, v29
	ds_bpermute_b32 v16, v3, v19
	s_waitcnt lgkmcnt(4)
	v_add3_u32 v6, v6, v17, v25
	s_waitcnt lgkmcnt(3)
	v_add3_u32 v6, v6, v18, v26
	s_waitcnt lgkmcnt(2)
	v_add3_u32 v6, v6, v20, v12
	s_add_i32 s28, s28, 64
	s_waitcnt lgkmcnt(1)
	v_add3_u32 v6, v6, v21, v13
	v_add_u32_e32 v7, s16, v7
	s_cmp_lt_i32 s28, s52
	s_waitcnt lgkmcnt(0)
	v_add3_u32 v6, v6, v19, v16
	s_cbranch_scc1 .LBB9_33
.LBB9_34:                               ;   in Loop: Header=BB9_31 Depth=1
	s_and_saveexec_b64 s[28:29], s[4:5]
	s_cbranch_execz .LBB9_30
; %bb.35:                               ;   in Loop: Header=BB9_31 Depth=1
	v_lshl_add_u32 v7, v5, 2, 0
	ds_write_b32 v7, v6 offset:4
	s_branch .LBB9_30
.LBB9_36:
	s_or_b64 exec, exec, s[8:9]
	s_lshl_b32 s16, s24, 2
	s_add_i32 s31, s16, 0
	v_mov_b32_e32 v1, 0
	v_mov_b32_e32 v2, s31
	v_cmp_gt_i32_e64 s[4:5], s24, v0
	ds_write_b32 v2, v1 offset:4
	s_and_saveexec_b64 s[6:7], s[4:5]
	s_cbranch_execz .LBB9_46
; %bb.37:
	v_xad_u32 v1, v0, -1, s24
	s_movk_i32 s8, 0xff
	v_cmp_lt_u32_e32 vcc, s8, v1
	s_mov_b64 s[10:11], 0
                                        ; implicit-def: $vgpr2
	s_and_saveexec_b64 s[8:9], vcc
	s_xor_b64 s[8:9], exec, s[8:9]
	s_cbranch_execnz .LBB9_40
; %bb.38:
	s_or_saveexec_b64 s[8:9], s[8:9]
	v_mov_b32_e32 v1, s16
	s_xor_b64 exec, exec, s[8:9]
	s_cbranch_execnz .LBB9_43
.LBB9_39:
	s_or_b64 exec, exec, s[8:9]
	s_and_b64 exec, exec, s[10:11]
	s_cbranch_execnz .LBB9_44
	s_branch .LBB9_46
.LBB9_40:
	v_lshrrev_b32_e32 v1, 8, v1
	v_add_u32_e32 v6, 1, v1
	v_and_b32_e32 v7, 0x1fffffe, v6
	v_add_u32_e32 v1, 0x100, v0
	v_lshlrev_b32_e32 v2, 2, v0
	v_add3_u32 v12, s31, v2, 8
	v_mov_b32_e32 v13, s41
	v_mov_b32_e32 v3, 0
	;; [unrolled: 1-line block ×3, first 2 shown]
	v_pk_mov_b32 v[4:5], v[0:1], v[0:1] op_sel:[0,1]
.LBB9_41:                               ; =>This Inner Loop Header: Depth=1
	v_mov_b32_e32 v2, v4
	v_lshlrev_b64 v[18:19], 2, v[2:3]
	v_mov_b32_e32 v2, v5
	v_add_co_u32_e32 v18, vcc, s40, v18
	v_addc_co_u32_e32 v19, vcc, v13, v19, vcc
	v_lshlrev_b64 v[20:21], 2, v[2:3]
	v_add_co_u32_e32 v20, vcc, s40, v20
	v_addc_co_u32_e32 v21, vcc, v13, v21, vcc
	global_load_dword v1, v[18:19], off
	global_load_dword v2, v[20:21], off
	v_add_u32_e32 v16, -2, v16
	v_cmp_eq_u32_e32 vcc, 0, v16
	v_add_u32_e32 v4, 0x200, v4
	v_add_u32_e32 v5, 0x200, v5
	s_or_b64 s[10:11], vcc, s[10:11]
	s_waitcnt vmcnt(0)
	ds_write2st64_b32 v12, v1, v2 offset1:4
	v_add_u32_e32 v12, 0x800, v12
	s_andn2_b64 exec, exec, s[10:11]
	s_cbranch_execnz .LBB9_41
; %bb.42:
	s_or_b64 exec, exec, s[10:11]
	v_cmp_ne_u32_e32 vcc, v6, v7
	v_lshl_add_u32 v2, v7, 8, v0
	s_and_b64 s[10:11], vcc, exec
	s_or_saveexec_b64 s[8:9], s[8:9]
	v_mov_b32_e32 v1, s16
	s_xor_b64 exec, exec, s[8:9]
	s_cbranch_execz .LBB9_39
.LBB9_43:
	v_mov_b32_e32 v1, s16
	s_or_b64 s[10:11], s[10:11], exec
	v_mov_b32_e32 v2, v0
	s_or_b64 exec, exec, s[8:9]
	s_and_b64 exec, exec, s[10:11]
	s_cbranch_execz .LBB9_46
.LBB9_44:
	v_mov_b32_e32 v3, 0
	v_lshlrev_b64 v[4:5], 2, v[2:3]
	v_lshl_add_u32 v1, v2, 2, v1
	v_mov_b32_e32 v3, s41
	v_add_co_u32_e32 v4, vcc, s40, v4
	v_add3_u32 v1, v1, 0, 8
	v_addc_co_u32_e32 v5, vcc, v3, v5, vcc
	s_mov_b64 s[8:9], 0
.LBB9_45:                               ; =>This Inner Loop Header: Depth=1
	global_load_dword v3, v[4:5], off
	v_add_co_u32_e32 v4, vcc, 0x400, v4
	v_add_u32_e32 v2, 0x100, v2
	v_addc_co_u32_e32 v5, vcc, 0, v5, vcc
	v_cmp_le_i32_e32 vcc, s24, v2
	s_or_b64 s[8:9], vcc, s[8:9]
	s_waitcnt vmcnt(0)
	ds_write_b32 v1, v3
	v_add_u32_e32 v1, 0x400, v1
	s_andn2_b64 exec, exec, s[8:9]
	s_cbranch_execnz .LBB9_45
.LBB9_46:
	s_or_b64 exec, exec, s[6:7]
	s_add_i32 s56, s31, 4
	s_cmp_lg_u32 s30, 0
	s_waitcnt lgkmcnt(0)
	s_barrier
	s_cbranch_scc1 .LBB9_57
; %bb.47:
	s_mov_b32 s30, 0
	s_cmp_lt_i32 s24, 1
	v_mov_b32_e32 v2, 0
	s_cbranch_scc1 .LBB9_54
; %bb.48:
	v_lshlrev_b32_e32 v2, 2, v9
	v_and_b32_e32 v3, 0xc0, v2
	v_cmp_eq_u32_e32 vcc, 0, v9
	s_add_i32 s34, s17, -1
	v_add_u32_e32 v1, -4, v3
	v_cmp_lt_u32_e64 s[6:7], 15, v9
	v_add_u32_e32 v3, 0xffffffbc, v3
	v_cmp_lt_u32_e64 s[8:9], 31, v9
	v_add_u32_e32 v4, 0, v2
	s_branch .LBB9_50
.LBB9_49:                               ;   in Loop: Header=BB9_50 Depth=1
	s_or_b64 exec, exec, s[28:29]
	s_add_i32 s30, s30, 64
	s_cmp_lt_i32 s30, s24
	v_add_u32_e32 v4, 0x100, v4
	s_waitcnt lgkmcnt(0)
	s_cbranch_scc0 .LBB9_54
.LBB9_50:                               ; =>This Inner Loop Header: Depth=1
	ds_read_b32 v7, v4 offset:4
	v_mov_b32_e32 v2, s30
	v_add_u32_e32 v5, s16, v4
	ds_read_b32 v6, v5 offset:8
	v_cndmask_b32_e32 v2, 0, v2, vcc
	s_waitcnt lgkmcnt(1)
	v_add_u32_e32 v7, s34, v7
	v_lshlrev_b32_e32 v2, 2, v2
	v_mul_hi_u32 v13, v7, s18
	v_add_u32_e32 v12, 0, v2
	v_add_u32_e32 v7, v7, v13
	v_lshrrev_b32_e32 v13, s19, v7
	v_add_u32_e32 v2, s56, v2
	ds_read_b32 v12, v12
	ds_read_b32 v7, v2
	v_mul_lo_u32 v2, v13, s17
	s_waitcnt lgkmcnt(2)
	v_cmp_ne_u32_e64 s[10:11], 0, v6
	v_cndmask_b32_e64 v2, 0, v2, s[10:11]
	s_waitcnt lgkmcnt(1)
	v_add_u32_e32 v2, v2, v12
	v_add_u32_e32 v13, s30, v9
	v_cmp_gt_i32_e64 s[10:11], s24, v13
	v_add_u32_dpp v2, v2, v2 row_shr:1 row_mask:0xf bank_mask:0xf bound_ctrl:1
	s_nop 1
	v_add_u32_dpp v2, v2, v2 row_shr:2 row_mask:0xf bank_mask:0xf bound_ctrl:1
	s_nop 1
	;; [unrolled: 2-line block ×3, first 2 shown]
	v_add_u32_dpp v2, v2, v2 row_shr:8 row_mask:0xf bank_mask:0xf bound_ctrl:1
	ds_bpermute_b32 v12, v1, v2
	s_waitcnt lgkmcnt(0)
	v_cndmask_b32_e64 v12, 0, v12, s[6:7]
	v_add_u32_e32 v2, v2, v12
	ds_bpermute_b32 v12, v3, v2
	s_waitcnt lgkmcnt(0)
	v_cndmask_b32_e64 v12, 0, v12, s[8:9]
	v_add_u32_e32 v2, v2, v12
	s_and_saveexec_b64 s[28:29], s[10:11]
	s_cbranch_execz .LBB9_52
; %bb.51:                               ;   in Loop: Header=BB9_50 Depth=1
	ds_write_b32 v4, v2 offset:4
.LBB9_52:                               ;   in Loop: Header=BB9_50 Depth=1
	s_or_b64 exec, exec, s[28:29]
	v_add_u32_e32 v6, v6, v7
	s_nop 1
	v_add_u32_dpp v6, v6, v6 row_shr:1 row_mask:0xf bank_mask:0xf bound_ctrl:1
	s_nop 1
	v_add_u32_dpp v6, v6, v6 row_shr:2 row_mask:0xf bank_mask:0xf bound_ctrl:1
	;; [unrolled: 2-line block ×4, first 2 shown]
	ds_bpermute_b32 v7, v1, v6
	s_waitcnt lgkmcnt(0)
	v_cndmask_b32_e64 v7, 0, v7, s[6:7]
	v_add_u32_e32 v6, v7, v6
	ds_bpermute_b32 v7, v3, v6
	s_and_saveexec_b64 s[28:29], s[10:11]
	s_cbranch_execz .LBB9_49
; %bb.53:                               ;   in Loop: Header=BB9_50 Depth=1
	s_waitcnt lgkmcnt(0)
	v_cndmask_b32_e64 v7, 0, v7, s[8:9]
	v_add_u32_e32 v6, v7, v6
	ds_write_b32 v5, v6 offset:8
	s_branch .LBB9_49
.LBB9_54:
	v_add_u32_e32 v1, s30, v9
	v_subrev_u32_e32 v1, 63, v1
	v_cmp_eq_u32_e32 vcc, s24, v1
	s_and_saveexec_b64 s[6:7], vcc
	s_cbranch_execz .LBB9_56
; %bb.55:
	v_mov_b32_e32 v1, 0
	v_mov_b32_e32 v3, s33
	global_store_dwordx2 v1, v[2:3], s[50:51]
.LBB9_56:
	s_or_b64 exec, exec, s[6:7]
.LBB9_57:
	s_cmp_eq_u64 s[14:15], 0
	s_barrier
	s_cbranch_scc1 .LBB9_64
; %bb.58:
	s_mul_i32 s28, s33, s20
	v_cmp_gt_i32_e32 vcc, s28, v0
	s_and_saveexec_b64 s[8:9], vcc
	s_cbranch_execz .LBB9_63
; %bb.59:
	v_lshlrev_b32_e32 v1, 2, v0
	v_mov_b32_e32 v3, s37
	v_add_co_u32_e32 v2, vcc, s36, v1
	v_addc_co_u32_e32 v3, vcc, 0, v3, vcc
	v_mov_b32_e32 v5, s15
	v_add_co_u32_e32 v4, vcc, s14, v1
	v_addc_co_u32_e32 v5, vcc, 0, v5, vcc
	s_mov_b64 s[10:11], 0
	v_mov_b32_e32 v1, s41
	v_mov_b32_e32 v12, v0
	s_branch .LBB9_61
.LBB9_60:                               ;   in Loop: Header=BB9_61 Depth=1
	s_or_b64 exec, exec, s[6:7]
	v_add_co_u32_e32 v2, vcc, 0x400, v2
	v_add_u32_e32 v12, 0x100, v12
	v_addc_co_u32_e32 v3, vcc, 0, v3, vcc
	s_waitcnt lgkmcnt(0)
	global_store_dword v[4:5], v7, off
	v_add_co_u32_e32 v4, vcc, 0x400, v4
	v_cmp_le_i32_e64 s[6:7], s28, v12
	s_or_b64 s[10:11], s[6:7], s[10:11]
	v_addc_co_u32_e32 v5, vcc, 0, v5, vcc
	s_andn2_b64 exec, exec, s[10:11]
	s_cbranch_execz .LBB9_63
.LBB9_61:                               ; =>This Inner Loop Header: Depth=1
	global_load_dword v6, v[2:3], off
	s_waitcnt vmcnt(0)
	v_ashrrev_i32_e32 v7, 31, v6
	v_lshlrev_b64 v[16:17], 2, v[6:7]
	v_add_co_u32_e32 v16, vcc, s40, v16
	v_addc_co_u32_e32 v17, vcc, v1, v17, vcc
	global_load_dword v7, v[16:17], off
	s_waitcnt vmcnt(0)
	v_cmp_ne_u32_e32 vcc, 0, v7
	v_mov_b32_e32 v7, -1
	s_and_saveexec_b64 s[6:7], vcc
	s_cbranch_execz .LBB9_60
; %bb.62:                               ;   in Loop: Header=BB9_61 Depth=1
	v_lshl_add_u32 v6, v6, 2, s56
	ds_read_b32 v7, v6
	s_branch .LBB9_60
.LBB9_63:
	s_or_b64 exec, exec, s[8:9]
	s_barrier
.LBB9_64:
	s_and_saveexec_b64 s[8:9], s[4:5]
	s_cbranch_execz .LBB9_71
; %bb.65:
	s_mov_b64 s[10:11], 0
	v_mov_b32_e32 v3, 0
	v_mov_b32_e32 v4, v0
	s_branch .LBB9_67
.LBB9_66:                               ;   in Loop: Header=BB9_67 Depth=1
	s_or_b64 exec, exec, s[14:15]
	v_add_u32_e32 v4, 0x100, v4
	v_cmp_le_i32_e32 vcc, s24, v4
	s_or_b64 s[10:11], vcc, s[10:11]
	s_andn2_b64 exec, exec, s[10:11]
	s_cbranch_execz .LBB9_71
.LBB9_67:                               ; =>This Loop Header: Depth=1
                                        ;     Child Loop BB9_70 Depth 2
	s_waitcnt lgkmcnt(1)
	v_lshlrev_b32_e32 v1, 2, v4
	v_add_u32_e32 v2, 0, v1
	ds_read2_b32 v[6:7], v2 offset1:1
	v_add_u32_e32 v2, s56, v1
	ds_read_b32 v1, v2
	s_waitcnt lgkmcnt(1)
	v_cmp_ne_u32_e32 vcc, v6, v7
	ds_write_b32 v2, v6
	s_and_saveexec_b64 s[14:15], vcc
	s_cbranch_execz .LBB9_66
; %bb.68:                               ;   in Loop: Header=BB9_67 Depth=1
	v_mov_b32_e32 v5, v3
	v_lshlrev_b64 v[12:13], 2, v[4:5]
	v_mov_b32_e32 v2, s41
	v_add_co_u32_e32 v12, vcc, s40, v12
	v_addc_co_u32_e32 v13, vcc, v2, v13, vcc
	global_load_dword v2, v[12:13], off
	v_cmp_lt_i32_e64 s[6:7], v6, v7
	s_waitcnt vmcnt(0)
	v_cmp_ne_u32_e32 vcc, 0, v2
	s_and_b64 s[6:7], s[6:7], vcc
	s_and_b64 exec, exec, s[6:7]
	s_cbranch_execz .LBB9_66
; %bb.69:                               ;   in Loop: Header=BB9_67 Depth=1
	s_mov_b64 s[6:7], 0
.LBB9_70:                               ;   Parent Loop BB9_67 Depth=1
                                        ; =>  This Inner Loop Header: Depth=2
	v_mul_hi_u32 v2, s18, v6
	v_add_u32_e32 v2, v6, v2
	v_add_u32_e32 v6, s17, v6
	v_lshrrev_b32_e32 v2, s19, v2
	v_cmp_ge_i32_e32 vcc, v6, v7
	v_lshlrev_b64 v[12:13], 2, v[2:3]
	v_mov_b32_e32 v5, s49
	s_or_b64 s[6:7], vcc, s[6:7]
	v_add_co_u32_e32 v12, vcc, s48, v12
	v_addc_co_u32_e32 v13, vcc, v5, v13, vcc
	s_waitcnt lgkmcnt(1)
	global_store_dword v[12:13], v1, off
	s_andn2_b64 exec, exec, s[6:7]
	s_cbranch_execnz .LBB9_70
	s_branch .LBB9_66
.LBB9_71:
	s_or_b64 exec, exec, s[8:9]
	s_waitcnt lgkmcnt(1)
	v_mov_b32_e32 v1, s31
	s_waitcnt lgkmcnt(0)
	s_barrier
	ds_read_b32 v1, v1
	s_add_i32 s6, s31, s16
	v_mov_b32_e32 v2, s6
	s_andn2_b64 vcc, exec, s[12:13]
	s_waitcnt lgkmcnt(0)
	ds_write_b32 v2, v1 offset:4
	s_cbranch_vccnz .LBB9_100
; %bb.72:
	s_sub_i32 s23, s25, s23
	s_add_u32 s59, s44, -4
	s_addc_u32 s60, s45, -1
	v_and_b32_e32 v1, 8, v9
	s_add_u32 s61, s38, -4
	v_cmp_eq_u32_e64 s[8:9], 0, v1
	v_lshrrev_b32_e32 v1, 8, v8
	s_addc_u32 s62, s39, -1
	v_add_u32_e32 v3, 1, v1
	s_add_u32 s63, s46, -4
	s_mov_b32 s19, 0
	v_and_b32_e32 v18, 0x1fffffe, v3
	s_addc_u32 s64, s47, -1
	s_lshl_b32 s34, s24, 3
	s_mov_b32 s18, s26
	s_mov_b32 s14, s21
	;; [unrolled: 1-line block ×3, first 2 shown]
	v_lshlrev_b32_e32 v16, 2, v0
	s_movk_i32 s10, 0xff
	v_lshl_add_u32 v2, v18, 8, v0
	v_cmp_ne_u32_e64 s[12:13], v3, v18
	s_add_i32 s16, s34, 0
	v_mov_b32_e32 v5, 0
	v_mov_b32_e32 v4, v0
	v_add3_u32 v3, v10, s34, v11
	s_lshl_b32 s67, s24, 5
	v_cmp_gt_i32_e32 vcc, s55, v0
	v_cmp_gt_i32_e64 s[6:7], s52, v15
	v_or_b32_e32 v17, 28, v16
	v_cmp_lt_u32_e64 s[10:11], s10, v8
	v_add_u32_e32 v1, 0x100, v0
	s_mov_b32 s57, s27
	s_mov_b32 s58, s23
	v_add_u32_e32 v19, s16, v16
	s_lshl_b32 s65, s23, 2
	s_lshl_b64 s[28:29], s[18:19], 8
	s_sub_i32 s66, 0, s20
	v_pk_mov_b32 v[6:7], v[4:5], v[4:5] op_sel:[0,1]
	v_mad_u64_u32 v[8:9], s[16:17], v0, s21, 0
	s_lshl_b64 s[30:31], s[14:15], 8
	v_mul_lo_u32 v20, s20, v15
	s_lshl_b32 s21, s20, 3
	v_add3_u32 v21, v3, 0, 8
	s_add_i32 s67, s67, 32
	v_lshlrev_b32_e32 v22, 2, v2
	s_mov_b32 s68, 0x4020100
	s_mov_b32 s69, s19
	s_branch .LBB9_74
.LBB9_73:                               ;   in Loop: Header=BB9_74 Depth=1
	s_or_b64 exec, exec, s[34:35]
	s_add_i32 s69, s69, s52
	s_add_i32 s19, s19, s55
	s_cmp_ge_i32 s69, s33
	v_add_u32_e32 v20, s55, v20
	s_waitcnt lgkmcnt(0)
	s_barrier
	s_cbranch_scc1 .LBB9_100
.LBB9_74:                               ; =>This Loop Header: Depth=1
                                        ;     Child Loop BB9_77 Depth 2
                                        ;     Child Loop BB9_83 Depth 2
	;; [unrolled: 1-line block ×4, first 2 shown]
                                        ;       Child Loop BB9_98 Depth 3
	s_and_saveexec_b64 s[16:17], s[0:1]
	s_cbranch_execz .LBB9_84
; %bb.75:                               ;   in Loop: Header=BB9_74 Depth=1
	s_mov_b64 s[14:15], -1
	v_mov_b32_e32 v23, v0
	v_mov_b32_e32 v3, v16
	v_pk_mov_b32 v[12:13], v[6:7], v[6:7] op_sel:[0,1]
	s_and_saveexec_b64 s[34:35], s[10:11]
	s_cbranch_execz .LBB9_81
; %bb.76:                               ;   in Loop: Header=BB9_74 Depth=1
	s_mov_b64 s[38:39], 0
	v_mov_b32_e32 v3, v18
	v_mov_b32_e32 v4, v19
	v_pk_mov_b32 v[10:11], v[0:1], v[0:1] op_sel:[0,1]
.LBB9_77:                               ;   Parent Loop BB9_74 Depth=1
                                        ; =>  This Inner Loop Header: Depth=2
	v_mul_hi_u32 v12, s18, v10
	v_mul_hi_u32 v13, s26, v11
	v_add_u32_e32 v13, v11, v13
	v_add_u32_e32 v12, v10, v12
	v_add_u32_e32 v3, -2, v3
	v_lshrrev_b32_e32 v12, s57, v12
	v_lshrrev_b32_e32 v13, s27, v13
	v_cmp_eq_u32_e64 s[14:15], 0, v3
	v_mul_lo_u32 v13, v13, s58
	v_mul_lo_u32 v12, v12, s23
	v_add_u32_e32 v11, 0x200, v11
	v_add_u32_e32 v10, 0x200, v10
	s_or_b64 s[38:39], s[14:15], s[38:39]
	v_lshl_add_u32 v12, v12, 2, v4
	v_lshl_add_u32 v13, v13, 2, v4
	v_add_u32_e32 v4, 0x800, v4
	ds_write_b32 v12, v5 offset:8
	ds_write_b32 v13, v5 offset:1032
	s_andn2_b64 exec, exec, s[38:39]
	s_cbranch_execnz .LBB9_77
; %bb.78:                               ;   in Loop: Header=BB9_74 Depth=1
	s_or_b64 exec, exec, s[38:39]
	s_mov_b64 s[14:15], 0
                                        ; implicit-def: $vgpr12_vgpr13
	s_and_saveexec_b64 s[38:39], s[12:13]
	s_xor_b64 s[38:39], exec, s[38:39]
; %bb.79:                               ;   in Loop: Header=BB9_74 Depth=1
	v_mov_b32_e32 v3, v5
	s_mov_b64 s[14:15], exec
	v_pk_mov_b32 v[12:13], v[2:3], v[2:3] op_sel:[0,1]
; %bb.80:                               ;   in Loop: Header=BB9_74 Depth=1
	s_or_b64 exec, exec, s[38:39]
	s_orn2_b64 s[14:15], s[14:15], exec
	v_mov_b32_e32 v23, v2
	v_mov_b32_e32 v3, v22
.LBB9_81:                               ;   in Loop: Header=BB9_74 Depth=1
	s_or_b64 exec, exec, s[34:35]
	s_and_b64 exec, exec, s[14:15]
	s_cbranch_execz .LBB9_84
; %bb.82:                               ;   in Loop: Header=BB9_74 Depth=1
	v_mad_u64_u32 v[10:11], s[14:15], s18, v12, 0
	v_mov_b32_e32 v12, v11
	v_mad_u64_u32 v[12:13], s[14:15], s18, v13, v[12:13]
	v_add_u32_e32 v4, s54, v3
	v_mov_b32_e32 v3, v12
	s_mov_b64 s[34:35], 0
.LBB9_83:                               ;   Parent Loop BB9_74 Depth=1
                                        ; =>  This Inner Loop Header: Depth=2
	v_mov_b32_e32 v12, s29
	v_add_co_u32_e64 v10, s[14:15], s28, v10
	v_add_u32_e32 v11, v23, v3
	v_add_u32_e32 v23, 0x100, v23
	v_addc_co_u32_e64 v3, s[14:15], v3, v12, s[14:15]
	v_lshrrev_b32_e32 v11, s27, v11
	v_cmp_le_i32_e64 s[14:15], s53, v23
	v_mad_u64_u32 v[12:13], s[38:39], s65, v11, v[4:5]
	v_add_u32_e32 v4, 0x400, v4
	s_or_b64 s[34:35], s[14:15], s[34:35]
	ds_write_b32 v12, v5
	s_andn2_b64 exec, exec, s[34:35]
	s_cbranch_execnz .LBB9_83
.LBB9_84:                               ;   in Loop: Header=BB9_74 Depth=1
	s_or_b64 exec, exec, s[16:17]
	s_waitcnt lgkmcnt(0)
	s_barrier
	s_and_saveexec_b64 s[16:17], vcc
	s_cbranch_execz .LBB9_89
; %bb.85:                               ;   in Loop: Header=BB9_74 Depth=1
	s_mov_b64 s[34:35], 0
	v_pk_mov_b32 v[10:11], v[8:9], v[8:9] op_sel:[0,1]
	v_mov_b32_e32 v3, v0
	s_branch .LBB9_87
.LBB9_86:                               ;   in Loop: Header=BB9_87 Depth=2
	s_or_b64 exec, exec, s[38:39]
	v_add_u32_e32 v3, 0x100, v3
	v_cmp_le_i32_e64 s[14:15], s55, v3
	v_mov_b32_e32 v4, s31
	s_or_b64 s[34:35], s[14:15], s[34:35]
	v_add_co_u32_e64 v10, s[14:15], s30, v10
	v_addc_co_u32_e64 v11, s[14:15], v11, v4, s[14:15]
	s_andn2_b64 exec, exec, s[34:35]
	s_cbranch_execz .LBB9_89
.LBB9_87:                               ;   Parent Loop BB9_74 Depth=1
                                        ; =>  This Inner Loop Header: Depth=2
	v_add_u32_e32 v4, v3, v11
	v_lshrrev_b32_e32 v4, s22, v4
	v_add_u32_e32 v12, s69, v4
	v_cmp_gt_i32_e64 s[14:15], s33, v12
	s_and_saveexec_b64 s[38:39], s[14:15]
	s_cbranch_execz .LBB9_86
; %bb.88:                               ;   in Loop: Header=BB9_87 Depth=2
	v_add_u32_e32 v12, s19, v3
	v_ashrrev_i32_e32 v13, 31, v12
	v_lshlrev_b64 v[12:13], 2, v[12:13]
	v_mov_b32_e32 v23, s37
	v_add_co_u32_e64 v12, s[14:15], s36, v12
	v_addc_co_u32_e64 v13, s[14:15], v23, v13, s[14:15]
	global_load_dword v12, v[12:13], off
	v_mul_lo_u32 v13, s66, v4
	v_mul_lo_u32 v4, v4, s25
	v_lshlrev_b32_e32 v4, 2, v4
	v_add3_u32 v13, v3, v13, 1
	s_waitcnt vmcnt(0)
	v_lshlrev_b32_e32 v12, 2, v12
	v_add3_u32 v4, s54, v12, v4
	ds_write_b32 v4, v13
	s_branch .LBB9_86
.LBB9_89:                               ;   in Loop: Header=BB9_74 Depth=1
	s_or_b64 exec, exec, s[16:17]
	s_waitcnt lgkmcnt(0)
	s_barrier
	s_and_saveexec_b64 s[34:35], s[2:3]
	s_cbranch_execz .LBB9_73
; %bb.90:                               ;   in Loop: Header=BB9_74 Depth=1
	s_mov_b64 s[38:39], 0
	v_mov_b32_e32 v3, v21
	v_mov_b32_e32 v4, v14
	s_branch .LBB9_94
.LBB9_91:                               ;   in Loop: Header=BB9_94 Depth=2
	s_or_b64 exec, exec, s[50:51]
.LBB9_92:                               ;   in Loop: Header=BB9_94 Depth=2
	s_or_b64 exec, exec, s[48:49]
	s_waitcnt lgkmcnt(0)
	ds_write_b32 v10, v11
.LBB9_93:                               ;   in Loop: Header=BB9_94 Depth=2
	s_or_b64 exec, exec, s[42:43]
	v_add_u32_e32 v4, 32, v4
	v_cmp_le_i32_e64 s[14:15], s24, v4
	s_or_b64 s[38:39], s[14:15], s[38:39]
	v_add_u32_e32 v3, 0x80, v3
	s_andn2_b64 exec, exec, s[38:39]
	s_cbranch_execz .LBB9_73
.LBB9_94:                               ;   Parent Loop BB9_74 Depth=1
                                        ; =>  This Loop Header: Depth=2
                                        ;       Child Loop BB9_98 Depth 3
	v_lshlrev_b64 v[10:11], 2, v[4:5]
	v_mov_b32_e32 v12, s41
	v_add_co_u32_e64 v10, s[14:15], s40, v10
	v_addc_co_u32_e64 v11, s[14:15], v12, v11, s[14:15]
	global_load_dword v10, v[10:11], off
	s_waitcnt vmcnt(0)
	v_cmp_ne_u32_e64 s[14:15], 0, v10
	s_and_saveexec_b64 s[42:43], s[14:15]
	s_cbranch_execz .LBB9_93
; %bb.95:                               ;   in Loop: Header=BB9_94 Depth=2
	v_lshl_add_u32 v10, v4, 2, 0
	ds_read_b32 v11, v10
	s_and_saveexec_b64 s[48:49], s[6:7]
	s_cbranch_execz .LBB9_92
; %bb.96:                               ;   in Loop: Header=BB9_94 Depth=2
	s_mov_b64 s[50:51], 0
	v_mov_b32_e32 v12, v3
	v_mov_b32_e32 v13, v20
	;; [unrolled: 1-line block ×3, first 2 shown]
	s_branch .LBB9_98
.LBB9_97:                               ;   in Loop: Header=BB9_98 Depth=3
	s_or_b64 exec, exec, s[16:17]
	ds_bpermute_b32 v24, v17, v24
	v_add_u32_e32 v23, 8, v23
	v_cmp_le_i32_e64 s[14:15], s52, v23
	v_add_u32_e32 v13, s21, v13
	s_or_b64 s[50:51], s[14:15], s[50:51]
	s_waitcnt lgkmcnt(0)
	v_add_u32_e32 v11, v24, v11
	v_add_u32_e32 v12, s67, v12
	s_andn2_b64 exec, exec, s[50:51]
	s_cbranch_execz .LBB9_91
.LBB9_98:                               ;   Parent Loop BB9_74 Depth=1
                                        ;     Parent Loop BB9_94 Depth=2
                                        ; =>    This Inner Loop Header: Depth=3
	ds_read_b32 v25, v12
	s_waitcnt lgkmcnt(0)
	v_cmp_ne_u32_e64 s[14:15], 0, v25
	v_cndmask_b32_e64 v24, 0, 1, s[14:15]
	s_nop 1
	v_mov_b32_dpp v24, v24 row_shr:1 row_mask:0xf bank_mask:0xf bound_ctrl:1
	v_addc_co_u32_e64 v26, s[16:17], 0, v24, s[14:15]
	s_nop 1
	v_mov_b32_dpp v26, v26 row_shr:2 row_mask:0xf bank_mask:0xf bound_ctrl:1
	v_addc_co_u32_e64 v24, s[16:17], v26, v24, s[14:15]
	s_nop 1
	v_add_u32_dpp v24, v24, v24 row_shr:4 row_mask:0xf bank_mask:0xf bound_ctrl:1
	s_nop 1
	v_add_u32_dpp v24, v24, v24 row_shr:8 row_mask:0xf bank_mask:0xf bound_ctrl:1
	s_nop 1
	v_mov_b32_dpp v26, v24 row_newbcast:7 row_mask:0xf bank_mask:0xf bound_ctrl:1
	v_cndmask_b32_e64 v26, v26, 0, s[8:9]
	v_sub_u32_e32 v24, v24, v26
	s_and_saveexec_b64 s[16:17], s[14:15]
	s_cbranch_execz .LBB9_97
; %bb.99:                               ;   in Loop: Header=BB9_98 Depth=3
	v_add_u32_e32 v26, v13, v25
	v_ashrrev_i32_e32 v27, 31, v26
	v_lshlrev_b64 v[26:27], 2, v[26:27]
	v_mov_b32_e32 v28, s62
	v_add_co_u32_e64 v26, s[14:15], s61, v26
	v_addc_co_u32_e64 v27, s[14:15], v28, v27, s[14:15]
	global_load_dword v30, v[26:27], off
	v_add_u32_e32 v26, s69, v23
	v_perm_b32 v25, v25, v26, s68
	v_add_u32_e32 v26, v24, v11
	v_ashrrev_i32_e32 v27, 31, v26
	v_lshlrev_b64 v[26:27], 2, v[26:27]
	v_mov_b32_e32 v29, s60
	v_add_co_u32_e64 v28, s[14:15], s59, v26
	v_add_u32_e32 v25, 0xff000000, v25
	v_addc_co_u32_e64 v29, s[14:15], v29, v27, s[14:15]
	global_store_dword v[28:29], v25, off
	v_mov_b32_e32 v25, s64
	v_add_co_u32_e64 v26, s[14:15], s63, v26
	v_addc_co_u32_e64 v27, s[14:15], v25, v27, s[14:15]
	s_waitcnt vmcnt(1)
	global_store_dword v[26:27], v30, off
	s_branch .LBB9_97
.LBB9_100:
	s_and_saveexec_b64 s[0:1], s[4:5]
	s_cbranch_execz .LBB9_111
; %bb.101:
	s_and_b32 s0, s33, 0xffffff
	s_lshl_b32 s1, s20, 24
	s_or_b32 s4, s0, s1
	s_mov_b32 s5, s4
	s_add_i32 s56, s56, 4
	s_mov_b64 s[2:3], 0
	s_mov_b32 s8, 0
	v_mov_b32_e32 v1, 0
	s_branch .LBB9_103
.LBB9_102:                              ;   in Loop: Header=BB9_103 Depth=1
	s_or_b64 exec, exec, s[12:13]
	v_add_u32_e32 v0, 0x100, v0
	v_cmp_le_i32_e32 vcc, s24, v0
	s_or_b64 s[2:3], vcc, s[2:3]
	s_andn2_b64 exec, exec, s[2:3]
	s_cbranch_execz .LBB9_111
.LBB9_103:                              ; =>This Loop Header: Depth=1
                                        ;     Child Loop BB9_106 Depth 2
                                        ;     Child Loop BB9_110 Depth 2
	v_lshlrev_b32_e32 v2, 2, v0
	v_add_u32_e32 v3, 0, v2
	v_add_u32_e32 v4, s56, v2
	ds_read_b32 v2, v3
	ds_read_b32 v8, v4
	s_waitcnt lgkmcnt(0)
	v_cmp_gt_i32_e32 vcc, v8, v2
	s_and_saveexec_b64 s[12:13], vcc
	s_cbranch_execz .LBB9_102
; %bb.104:                              ;   in Loop: Header=BB9_103 Depth=1
	v_sub_u32_e32 v3, v8, v2
	v_cmp_lt_u32_e32 vcc, 15, v3
	s_mov_b64 s[6:7], -1
	s_and_saveexec_b64 s[0:1], vcc
	s_cbranch_execz .LBB9_108
; %bb.105:                              ;   in Loop: Header=BB9_103 Depth=1
	v_and_b32_e32 v6, -16, v3
	s_mov_b64 s[14:15], 0
	v_mov_b32_e32 v4, v2
	v_mov_b32_e32 v7, v6
.LBB9_106:                              ;   Parent Loop BB9_103 Depth=1
                                        ; =>  This Inner Loop Header: Depth=2
	v_ashrrev_i32_e32 v5, 31, v4
	v_lshlrev_b64 v[14:15], 2, v[4:5]
	v_mov_b32_e32 v5, s45
	v_add_co_u32_e32 v16, vcc, s44, v14
	v_addc_co_u32_e32 v17, vcc, v5, v15, vcc
	s_mov_b32 s6, s4
	s_mov_b32 s7, s5
	v_pk_mov_b32 v[12:13], s[6:7], s[6:7] op_sel:[0,1]
	v_mov_b32_e32 v5, s47
	v_add_co_u32_e32 v14, vcc, s46, v14
	v_pk_mov_b32 v[10:11], s[4:5], s[4:5] op_sel:[0,1]
	v_addc_co_u32_e32 v15, vcc, v5, v15, vcc
	s_mov_b32 s10, s8
	s_mov_b32 s11, s8
	v_add_u32_e32 v7, -16, v7
	global_store_dwordx4 v[16:17], v[10:13], off
	global_store_dwordx4 v[16:17], v[10:13], off offset:16
	global_store_dwordx4 v[16:17], v[10:13], off offset:32
	global_store_dwordx4 v[16:17], v[10:13], off offset:48
	s_mov_b32 s9, s8
	v_pk_mov_b32 v[12:13], s[10:11], s[10:11] op_sel:[0,1]
	v_cmp_eq_u32_e32 vcc, 0, v7
	v_pk_mov_b32 v[10:11], s[8:9], s[8:9] op_sel:[0,1]
	s_or_b64 s[14:15], vcc, s[14:15]
	v_add_u32_e32 v4, 16, v4
	global_store_dwordx4 v[14:15], v[10:13], off
	global_store_dwordx4 v[14:15], v[10:13], off offset:16
	global_store_dwordx4 v[14:15], v[10:13], off offset:32
	;; [unrolled: 1-line block ×3, first 2 shown]
	s_andn2_b64 exec, exec, s[14:15]
	s_cbranch_execnz .LBB9_106
; %bb.107:                              ;   in Loop: Header=BB9_103 Depth=1
	s_or_b64 exec, exec, s[14:15]
	v_cmp_ne_u32_e32 vcc, v3, v6
	v_add_u32_e32 v2, v2, v6
	s_orn2_b64 s[6:7], vcc, exec
.LBB9_108:                              ;   in Loop: Header=BB9_103 Depth=1
	s_or_b64 exec, exec, s[0:1]
	s_and_b64 exec, exec, s[6:7]
	s_cbranch_execz .LBB9_102
; %bb.109:                              ;   in Loop: Header=BB9_103 Depth=1
	v_ashrrev_i32_e32 v3, 31, v2
	v_lshlrev_b64 v[6:7], 2, v[2:3]
	v_mov_b32_e32 v3, s45
	v_add_co_u32_e32 v4, vcc, s44, v6
	v_addc_co_u32_e32 v5, vcc, v3, v7, vcc
	v_mov_b32_e32 v3, s47
	v_add_co_u32_e32 v6, vcc, s46, v6
	v_addc_co_u32_e32 v7, vcc, v3, v7, vcc
	s_mov_b64 s[6:7], 0
.LBB9_110:                              ;   Parent Loop BB9_103 Depth=1
                                        ; =>  This Inner Loop Header: Depth=2
	global_store_dword v[6:7], v1, off
	v_add_co_u32_e32 v6, vcc, 4, v6
	v_mov_b32_e32 v3, s4
	v_add_u32_e32 v2, 1, v2
	v_addc_co_u32_e32 v7, vcc, 0, v7, vcc
	global_store_dword v[4:5], v3, off
	v_cmp_ge_i32_e32 vcc, v2, v8
	v_add_co_u32_e64 v4, s[0:1], 4, v4
	s_or_b64 s[6:7], vcc, s[6:7]
	v_addc_co_u32_e64 v5, vcc, 0, v5, s[0:1]
	s_andn2_b64 exec, exec, s[6:7]
	s_cbranch_execnz .LBB9_110
	s_branch .LBB9_102
.LBB9_111:
	s_endpgm
	.section	.rodata,"a",@progbits
	.p2align	6, 0x0
	.amdhsa_kernel _ZN5aiter22opus_moe_sorting_entryINS_16MoeSortingKernelINS_19MoeSortingProblemExIifLi8ELb0ELb1ELb1ELb1ELi0EEEEENS4_5KargsEEEvT0_
		.amdhsa_group_segment_fixed_size 0
		.amdhsa_private_segment_fixed_size 0
		.amdhsa_kernarg_size 400
		.amdhsa_user_sgpr_count 6
		.amdhsa_user_sgpr_private_segment_buffer 1
		.amdhsa_user_sgpr_dispatch_ptr 0
		.amdhsa_user_sgpr_queue_ptr 0
		.amdhsa_user_sgpr_kernarg_segment_ptr 1
		.amdhsa_user_sgpr_dispatch_id 0
		.amdhsa_user_sgpr_flat_scratch_init 0
		.amdhsa_user_sgpr_kernarg_preload_length 0
		.amdhsa_user_sgpr_kernarg_preload_offset 0
		.amdhsa_user_sgpr_private_segment_size 0
		.amdhsa_uses_dynamic_stack 0
		.amdhsa_system_sgpr_private_segment_wavefront_offset 0
		.amdhsa_system_sgpr_workgroup_id_x 1
		.amdhsa_system_sgpr_workgroup_id_y 0
		.amdhsa_system_sgpr_workgroup_id_z 0
		.amdhsa_system_sgpr_workgroup_info 0
		.amdhsa_system_vgpr_workitem_id 0
		.amdhsa_next_free_vgpr 31
		.amdhsa_next_free_sgpr 70
		.amdhsa_accum_offset 32
		.amdhsa_reserve_vcc 1
		.amdhsa_reserve_flat_scratch 0
		.amdhsa_float_round_mode_32 0
		.amdhsa_float_round_mode_16_64 0
		.amdhsa_float_denorm_mode_32 3
		.amdhsa_float_denorm_mode_16_64 3
		.amdhsa_dx10_clamp 1
		.amdhsa_ieee_mode 1
		.amdhsa_fp16_overflow 0
		.amdhsa_tg_split 0
		.amdhsa_exception_fp_ieee_invalid_op 0
		.amdhsa_exception_fp_denorm_src 0
		.amdhsa_exception_fp_ieee_div_zero 0
		.amdhsa_exception_fp_ieee_overflow 0
		.amdhsa_exception_fp_ieee_underflow 0
		.amdhsa_exception_fp_ieee_inexact 0
		.amdhsa_exception_int_div_zero 0
	.end_amdhsa_kernel
	.section	.text._ZN5aiter22opus_moe_sorting_entryINS_16MoeSortingKernelINS_19MoeSortingProblemExIifLi8ELb0ELb1ELb1ELb1ELi0EEEEENS4_5KargsEEEvT0_,"axG",@progbits,_ZN5aiter22opus_moe_sorting_entryINS_16MoeSortingKernelINS_19MoeSortingProblemExIifLi8ELb0ELb1ELb1ELb1ELi0EEEEENS4_5KargsEEEvT0_,comdat
.Lfunc_end9:
	.size	_ZN5aiter22opus_moe_sorting_entryINS_16MoeSortingKernelINS_19MoeSortingProblemExIifLi8ELb0ELb1ELb1ELb1ELi0EEEEENS4_5KargsEEEvT0_, .Lfunc_end9-_ZN5aiter22opus_moe_sorting_entryINS_16MoeSortingKernelINS_19MoeSortingProblemExIifLi8ELb0ELb1ELb1ELb1ELi0EEEEENS4_5KargsEEEvT0_
                                        ; -- End function
	.section	.AMDGPU.csdata,"",@progbits
; Kernel info:
; codeLenInByte = 5244
; NumSgprs: 74
; NumVgprs: 31
; NumAgprs: 0
; TotalNumVgprs: 31
; ScratchSize: 0
; MemoryBound: 0
; FloatMode: 240
; IeeeMode: 1
; LDSByteSize: 0 bytes/workgroup (compile time only)
; SGPRBlocks: 9
; VGPRBlocks: 3
; NumSGPRsForWavesPerEU: 74
; NumVGPRsForWavesPerEU: 31
; AccumOffset: 32
; Occupancy: 8
; WaveLimiterHint : 1
; COMPUTE_PGM_RSRC2:SCRATCH_EN: 0
; COMPUTE_PGM_RSRC2:USER_SGPR: 6
; COMPUTE_PGM_RSRC2:TRAP_HANDLER: 0
; COMPUTE_PGM_RSRC2:TGID_X_EN: 1
; COMPUTE_PGM_RSRC2:TGID_Y_EN: 0
; COMPUTE_PGM_RSRC2:TGID_Z_EN: 0
; COMPUTE_PGM_RSRC2:TIDIG_COMP_CNT: 0
; COMPUTE_PGM_RSRC3_GFX90A:ACCUM_OFFSET: 7
; COMPUTE_PGM_RSRC3_GFX90A:TG_SPLIT: 0
	.section	.text._ZN5aiter22opus_moe_sorting_entryINS_16MoeSortingKernelINS_19MoeSortingProblemExIifLi4ELb0ELb1ELb1ELb1ELi0EEEEENS4_5KargsEEEvT0_,"axG",@progbits,_ZN5aiter22opus_moe_sorting_entryINS_16MoeSortingKernelINS_19MoeSortingProblemExIifLi4ELb0ELb1ELb1ELb1ELi0EEEEENS4_5KargsEEEvT0_,comdat
	.protected	_ZN5aiter22opus_moe_sorting_entryINS_16MoeSortingKernelINS_19MoeSortingProblemExIifLi4ELb0ELb1ELb1ELb1ELi0EEEEENS4_5KargsEEEvT0_ ; -- Begin function _ZN5aiter22opus_moe_sorting_entryINS_16MoeSortingKernelINS_19MoeSortingProblemExIifLi4ELb0ELb1ELb1ELb1ELi0EEEEENS4_5KargsEEEvT0_
	.globl	_ZN5aiter22opus_moe_sorting_entryINS_16MoeSortingKernelINS_19MoeSortingProblemExIifLi4ELb0ELb1ELb1ELb1ELi0EEEEENS4_5KargsEEEvT0_
	.p2align	8
	.type	_ZN5aiter22opus_moe_sorting_entryINS_16MoeSortingKernelINS_19MoeSortingProblemExIifLi4ELb0ELb1ELb1ELb1ELi0EEEEENS4_5KargsEEEvT0_,@function
_ZN5aiter22opus_moe_sorting_entryINS_16MoeSortingKernelINS_19MoeSortingProblemExIifLi4ELb0ELb1ELb1ELb1ELi0EEEEENS4_5KargsEEEvT0_: ; @_ZN5aiter22opus_moe_sorting_entryINS_16MoeSortingKernelINS_19MoeSortingProblemExIifLi4ELb0ELb1ELb1ELb1ELi0EEEEENS4_5KargsEEEvT0_
; %bb.0:
	s_load_dwordx16 s[36:51], s[4:5], 0x0
	s_load_dwordx4 s[12:15], s[4:5], 0x40
	s_load_dwordx4 s[24:27], s[4:5], 0x54
	s_cmp_eq_u32 s6, 0
	s_waitcnt lgkmcnt(0)
	s_load_dword s33, s[42:43], 0x0
	s_cbranch_scc1 .LBB10_7
; %bb.1:
	s_cmp_eq_u64 s[12:13], 0
	s_mov_b64 s[2:3], 0
	s_cbranch_scc1 .LBB10_6
; %bb.2:
	s_waitcnt lgkmcnt(0)
	s_ashr_i32 s0, s33, 31
	s_mul_i32 s7, s26, s25
	s_mul_hi_i32 s1, s26, s25
	s_mul_i32 s0, s7, s0
	s_mul_hi_u32 s8, s7, s33
	s_add_i32 s0, s8, s0
	s_mul_i32 s1, s1, s33
	s_add_i32 s1, s0, s1
	s_mul_i32 s0, s7, s33
	s_ashr_i32 s7, s1, 31
	s_lshr_b32 s8, s7, 28
	s_add_u32 s0, s0, s8
	s_addc_u32 s1, s1, 0
	v_lshl_add_u32 v1, s6, 8, v0
	s_ashr_i64 s[8:9], s[0:1], 4
	v_add_u32_e32 v2, 0xffffff00, v1
	v_mov_b32_e32 v3, 0
	s_mov_b32 s7, 0
	v_cmp_gt_i64_e32 vcc, s[8:9], v[2:3]
	s_and_saveexec_b64 s[10:11], vcc
	s_cbranch_execz .LBB10_5
; %bb.3:
	s_load_dword s0, s[4:5], 0x90
	v_lshlrev_b64 v[4:5], 4, v[2:3]
	v_mov_b32_e32 v1, s13
	v_add_co_u32_e32 v8, vcc, s12, v4
	s_waitcnt lgkmcnt(0)
	s_lshl_b32 s0, s0, 8
	s_add_i32 s6, s0, 0xffffff00
	s_lshl_b64 s[12:13], s[6:7], 4
	v_pk_mov_b32 v[6:7], v[2:3], v[2:3] op_sel:[0,1]
	v_addc_co_u32_e32 v9, vcc, v1, v5, vcc
	s_mov_b64 s[16:17], 0
	v_mov_b32_e32 v2, v3
	v_mov_b32_e32 v4, v3
	;; [unrolled: 1-line block ×5, first 2 shown]
.LBB10_4:                               ; =>This Inner Loop Header: Depth=1
	v_add_co_u32_e32 v6, vcc, s6, v6
	v_addc_co_u32_e32 v7, vcc, v7, v1, vcc
	global_store_dwordx4 v[8:9], v[2:5], off
	v_add_co_u32_e32 v8, vcc, s12, v8
	v_cmp_le_i64_e64 s[0:1], s[8:9], v[6:7]
	s_or_b64 s[16:17], s[0:1], s[16:17]
	v_addc_co_u32_e32 v9, vcc, v9, v10, vcc
	s_andn2_b64 exec, exec, s[16:17]
	s_cbranch_execnz .LBB10_4
.LBB10_5:
	s_or_b64 exec, exec, s[10:11]
.LBB10_6:
	s_andn2_b64 vcc, exec, s[2:3]
	s_cbranch_vccz .LBB10_8
	s_branch .LBB10_111
.LBB10_7:
.LBB10_8:
	s_load_dwordx8 s[16:23], s[4:5], 0x64
	s_load_dwordx2 s[26:27], s[4:5], 0x84
	v_lshrrev_b32_e32 v1, 6, v0
	s_add_i32 s25, s24, 1
	v_readfirstlane_b32 s30, v1
	s_waitcnt lgkmcnt(0)
	s_add_i32 s52, s16, -2
	s_mul_i32 s53, s52, s24
	v_cmp_gt_i32_e64 s[0:1], s53, v0
	v_xad_u32 v8, v0, -1, s53
	s_and_saveexec_b64 s[2:3], s[0:1]
	s_cbranch_execz .LBB10_18
; %bb.9:
	s_movk_i32 s6, 0xff
	s_mov_b32 s5, 0
	s_mov_b32 s4, s26
	s_sub_i32 s10, s25, s23
	v_cmp_lt_u32_e32 vcc, s6, v8
	s_mov_b64 s[8:9], 0
                                        ; implicit-def: $vgpr1
                                        ; implicit-def: $sgpr11
	s_and_saveexec_b64 s[6:7], vcc
	s_xor_b64 s[6:7], exec, s[6:7]
	s_cbranch_execnz .LBB10_12
; %bb.10:
	s_or_saveexec_b64 s[6:7], s[6:7]
	v_mov_b32_e32 v2, s11
	s_xor_b64 exec, exec, s[6:7]
	s_cbranch_execnz .LBB10_15
.LBB10_11:
	s_or_b64 exec, exec, s[6:7]
	s_and_b64 exec, exec, s[8:9]
	s_cbranch_execnz .LBB10_16
	s_branch .LBB10_18
.LBB10_12:
	v_lshrrev_b32_e32 v1, 8, v8
	v_add_u32_e32 v4, 1, v1
	s_lshl_b32 s11, s24, 3
	v_and_b32_e32 v5, 0x1fffffe, v4
	v_add_u32_e32 v1, 0x100, v0
	s_add_i32 s8, s11, 0
	s_mov_b32 s12, s4
	s_mov_b32 s13, s27
	;; [unrolled: 1-line block ×4, first 2 shown]
	v_lshl_add_u32 v6, v0, 2, s8
	s_mov_b64 s[8:9], 0
	v_mov_b32_e32 v7, 0
	v_mov_b32_e32 v9, v5
	v_pk_mov_b32 v[2:3], v[0:1], v[0:1] op_sel:[0,1]
.LBB10_13:                              ; =>This Inner Loop Header: Depth=1
	v_mul_hi_u32 v1, s4, v2
	v_mul_hi_u32 v10, s12, v3
	v_add_u32_e32 v10, v3, v10
	v_add_u32_e32 v1, v2, v1
	v_add_u32_e32 v9, -2, v9
	v_lshrrev_b32_e32 v1, s13, v1
	v_lshrrev_b32_e32 v10, s28, v10
	v_cmp_eq_u32_e32 vcc, 0, v9
	v_mul_lo_u32 v10, v10, s29
	v_mul_lo_u32 v1, v1, s10
	v_add_u32_e32 v3, 0x200, v3
	v_add_u32_e32 v2, 0x200, v2
	s_or_b64 s[8:9], vcc, s[8:9]
	v_lshl_add_u32 v1, v1, 2, v6
	v_lshl_add_u32 v10, v10, 2, v6
	v_add_u32_e32 v6, 0x800, v6
	ds_write_b32 v1, v7 offset:8
	ds_write_b32 v10, v7 offset:1032
	s_andn2_b64 exec, exec, s[8:9]
	s_cbranch_execnz .LBB10_13
; %bb.14:
	s_or_b64 exec, exec, s[8:9]
	v_cmp_ne_u32_e32 vcc, v4, v5
	v_lshl_add_u32 v1, v5, 8, v0
	s_and_b64 s[8:9], vcc, exec
	s_or_saveexec_b64 s[6:7], s[6:7]
	v_mov_b32_e32 v2, s11
	s_xor_b64 exec, exec, s[6:7]
	s_cbranch_execz .LBB10_11
.LBB10_15:
	s_lshl_b32 s11, s24, 3
	v_mov_b32_e32 v2, s11
	s_or_b64 s[8:9], s[8:9], exec
	v_mov_b32_e32 v1, v0
	s_or_b64 exec, exec, s[6:7]
	s_and_b64 exec, exec, s[8:9]
	s_cbranch_execz .LBB10_18
.LBB10_16:
	v_lshl_add_u32 v2, v1, 2, v2
	v_mad_u64_u32 v[4:5], s[6:7], v1, s4, 0
	s_lshl_b64 s[4:5], s[4:5], 8
	s_lshl_b32 s8, s10, 2
	v_add3_u32 v2, v2, 0, 8
	s_mov_b64 s[6:7], 0
	v_mov_b32_e32 v3, 0
	v_mov_b32_e32 v6, s5
.LBB10_17:                              ; =>This Inner Loop Header: Depth=1
	v_add_co_u32_e32 v4, vcc, s4, v4
	v_add_u32_e32 v7, v1, v5
	v_add_u32_e32 v1, 0x100, v1
	v_addc_co_u32_e32 v5, vcc, v5, v6, vcc
	v_lshrrev_b32_e32 v7, s27, v7
	v_cmp_le_i32_e32 vcc, s53, v1
	v_mad_u64_u32 v[10:11], s[10:11], s8, v7, v[2:3]
	v_add_u32_e32 v2, 0x400, v2
	s_or_b64 s[6:7], vcc, s[6:7]
	ds_write_b32 v10, v3
	s_andn2_b64 exec, exec, s[6:7]
	s_cbranch_execnz .LBB10_17
.LBB10_18:
	s_or_b64 exec, exec, s[2:3]
	s_lshl_b32 s2, s25, 3
	s_add_i32 s54, s2, 0
	s_cmp_gt_i32 s33, 0
	s_mul_i32 s55, s20, s52
	s_mov_b32 s5, 0
	s_cselect_b64 s[12:13], -1, 0
	s_cmp_lt_i32 s33, 1
	v_cmp_gt_i32_e32 vcc, s55, v0
	s_waitcnt lgkmcnt(0)
	s_barrier
	s_cbranch_scc1 .LBB10_26
; %bb.19:
	s_mov_b32 s4, s21
	v_mad_u64_u32 v[2:3], s[2:3], v0, s21, 0
	s_lshl_b64 s[6:7], s[4:5], 8
	v_mov_b32_e32 v5, 0
	s_mov_b32 s4, 0
	s_branch .LBB10_21
.LBB10_20:                              ;   in Loop: Header=BB10_21 Depth=1
	s_or_b64 exec, exec, s[8:9]
	s_add_i32 s4, s4, s52
	s_add_i32 s5, s5, s55
	s_cmp_ge_i32 s4, s33
	s_barrier
	s_cbranch_scc1 .LBB10_26
.LBB10_21:                              ; =>This Loop Header: Depth=1
                                        ;     Child Loop BB10_24 Depth 2
	s_and_saveexec_b64 s[8:9], vcc
	s_cbranch_execz .LBB10_20
; %bb.22:                               ;   in Loop: Header=BB10_21 Depth=1
	s_mov_b64 s[10:11], 0
	v_pk_mov_b32 v[6:7], v[2:3], v[2:3] op_sel:[0,1]
	v_mov_b32_e32 v1, v0
	s_branch .LBB10_24
.LBB10_23:                              ;   in Loop: Header=BB10_24 Depth=2
	s_or_b64 exec, exec, s[28:29]
	v_add_u32_e32 v1, 0x100, v1
	v_cmp_le_i32_e64 s[2:3], s55, v1
	v_mov_b32_e32 v4, s7
	s_or_b64 s[10:11], s[2:3], s[10:11]
	v_add_co_u32_e64 v6, s[2:3], s6, v6
	v_addc_co_u32_e64 v7, s[2:3], v7, v4, s[2:3]
	s_waitcnt lgkmcnt(0)
	s_andn2_b64 exec, exec, s[10:11]
	s_cbranch_execz .LBB10_20
.LBB10_24:                              ;   Parent Loop BB10_21 Depth=1
                                        ; =>  This Inner Loop Header: Depth=2
	v_add_u32_e32 v4, v1, v7
	v_lshrrev_b32_e32 v9, s22, v4
	v_add_u32_e32 v4, s4, v9
	v_cmp_gt_i32_e64 s[2:3], s33, v4
	s_and_saveexec_b64 s[28:29], s[2:3]
	s_cbranch_execz .LBB10_23
; %bb.25:                               ;   in Loop: Header=BB10_24 Depth=2
	v_add_u32_e32 v4, s5, v1
	v_lshlrev_b64 v[10:11], 2, v[4:5]
	v_mov_b32_e32 v4, s37
	v_add_co_u32_e64 v10, s[2:3], s36, v10
	v_addc_co_u32_e64 v11, s[2:3], v4, v11, s[2:3]
	global_load_dword v4, v[10:11], off
	v_mul_lo_u32 v9, v9, s25
	v_lshlrev_b32_e32 v9, 2, v9
	s_waitcnt vmcnt(0)
	v_lshlrev_b32_e32 v4, 2, v4
	v_add3_u32 v4, s54, v4, v9
	ds_read_b32 v9, v4
	s_waitcnt lgkmcnt(0)
	v_add_u32_e32 v9, 1, v9
	ds_write_b32 v4, v9
	s_branch .LBB10_23
.LBB10_26:
	v_cmp_eq_u32_e32 vcc, 0, v0
	s_and_saveexec_b64 s[2:3], vcc
	s_cbranch_execz .LBB10_28
; %bb.27:
	v_mov_b32_e32 v1, 0
	ds_write_b32 v1, v1
.LBB10_28:
	s_or_b64 exec, exec, s[2:3]
	v_mbcnt_lo_u32_b32 v1, -1, 0
	v_and_b32_e32 v15, 7, v0
	v_mbcnt_hi_u32_b32 v9, -1, v1
	v_lshrrev_b32_e32 v14, 3, v0
	v_mul_lo_u32 v1, s25, v15
	v_cmp_gt_i32_e64 s[2:3], s24, v14
	v_lshlrev_b32_e32 v10, 2, v14
	v_lshlrev_b32_e32 v11, 2, v1
	s_and_saveexec_b64 s[8:9], s[2:3]
	s_cbranch_execz .LBB10_36
; %bb.29:
	s_cmp_gt_i32 s16, 2
	s_mul_i32 s10, s24, 0x68
	s_cselect_b64 s[6:7], -1, 0
	s_add_i32 s10, s10, 0
	v_add_u32_e32 v4, s10, v11
	s_mul_i32 s10, s24, 0x48
	s_add_i32 s10, s10, 0
	v_add_u32_e32 v5, s10, v11
	s_mul_i32 s10, s24, 40
	s_add_i32 s10, s10, 0
	v_add3_u32 v6, s10, v11, 40
	s_lshl_b32 s10, s24, 3
	v_lshlrev_b32_e32 v3, 2, v9
	s_lshl_b32 s16, s24, 7
	s_add_i32 s10, s10, 0
	v_cndmask_b32_e64 v12, 0, 1, s[6:7]
	v_xor_b32_e32 v1, 4, v3
	v_xor_b32_e32 v2, 8, v3
	;; [unrolled: 1-line block ×3, first 2 shown]
	v_cmp_eq_u32_e64 s[4:5], 0, v15
	v_add_u32_e32 v4, 0x68, v4
	s_addk_i32 s16, 0x80
	v_add_u32_e32 v5, 0x48, v5
	v_add3_u32 v7, s10, v11, 8
	s_mov_b64 s[10:11], 0
	v_cmp_ne_u32_e64 s[6:7], 1, v12
	v_mov_b32_e32 v12, v14
	s_branch .LBB10_31
.LBB10_30:                              ;   in Loop: Header=BB10_31 Depth=1
	s_or_b64 exec, exec, s[28:29]
	v_add_u32_e32 v12, 32, v12
	v_cmp_le_i32_e32 vcc, s24, v12
	v_add_u32_e32 v4, 0x80, v4
	v_add_u32_e32 v5, 0x80, v5
	;; [unrolled: 1-line block ×3, first 2 shown]
	s_or_b64 s[10:11], vcc, s[10:11]
	v_add_u32_e32 v7, 0x80, v7
	s_andn2_b64 exec, exec, s[10:11]
	s_cbranch_execz .LBB10_36
.LBB10_31:                              ; =>This Loop Header: Depth=1
                                        ;     Child Loop BB10_33 Depth 2
	s_and_b64 vcc, exec, s[6:7]
	v_mov_b32_e32 v13, 0
	s_cbranch_vccnz .LBB10_34
; %bb.32:                               ;   in Loop: Header=BB10_31 Depth=1
	s_mov_b32 s28, 0
	v_mov_b32_e32 v13, 0
	v_mov_b32_e32 v16, v7
	;; [unrolled: 1-line block ×5, first 2 shown]
.LBB10_33:                              ;   Parent Loop BB10_31 Depth=1
                                        ; =>  This Inner Loop Header: Depth=2
	v_add_u32_e32 v20, v16, v10
	v_add_u32_e32 v21, v17, v10
	;; [unrolled: 1-line block ×4, first 2 shown]
	ds_read_b32 v20, v20
	ds_read_b32 v21, v21
	;; [unrolled: 1-line block ×4, first 2 shown]
	s_add_i32 s28, s28, 32
	s_waitcnt lgkmcnt(3)
	ds_bpermute_b32 v24, v1, v20
	s_waitcnt lgkmcnt(3)
	ds_bpermute_b32 v25, v1, v21
	;; [unrolled: 2-line block ×4, first 2 shown]
	v_add_u32_e32 v19, s16, v19
	s_waitcnt lgkmcnt(3)
	v_add_u32_e32 v20, v24, v20
	s_waitcnt lgkmcnt(2)
	v_add_u32_e32 v21, v25, v21
	ds_bpermute_b32 v24, v2, v20
	s_waitcnt lgkmcnt(2)
	v_add_u32_e32 v22, v26, v22
	ds_bpermute_b32 v25, v2, v21
	;; [unrolled: 3-line block ×3, first 2 shown]
	ds_bpermute_b32 v27, v2, v23
	s_waitcnt lgkmcnt(3)
	v_add_u32_e32 v20, v24, v20
	s_waitcnt lgkmcnt(2)
	v_add_u32_e32 v21, v25, v21
	ds_bpermute_b32 v24, v3, v20
	s_waitcnt lgkmcnt(2)
	v_add_u32_e32 v22, v26, v22
	ds_bpermute_b32 v25, v3, v21
	;; [unrolled: 3-line block ×3, first 2 shown]
	ds_bpermute_b32 v27, v3, v23
	s_waitcnt lgkmcnt(3)
	v_add3_u32 v13, v20, v13, v24
	s_waitcnt lgkmcnt(2)
	v_add3_u32 v13, v13, v21, v25
	v_add_u32_e32 v18, s16, v18
	s_waitcnt lgkmcnt(1)
	v_add3_u32 v13, v13, v22, v26
	v_add_u32_e32 v17, s16, v17
	v_add_u32_e32 v16, s16, v16
	s_cmp_lt_i32 s28, s52
	s_waitcnt lgkmcnt(0)
	v_add3_u32 v13, v13, v23, v27
	s_cbranch_scc1 .LBB10_33
.LBB10_34:                              ;   in Loop: Header=BB10_31 Depth=1
	s_and_saveexec_b64 s[28:29], s[4:5]
	s_cbranch_execz .LBB10_30
; %bb.35:                               ;   in Loop: Header=BB10_31 Depth=1
	v_lshl_add_u32 v16, v12, 2, 0
	ds_write_b32 v16, v13 offset:4
	s_branch .LBB10_30
.LBB10_36:
	s_or_b64 exec, exec, s[8:9]
	s_lshl_b32 s16, s24, 2
	s_add_i32 s31, s16, 0
	v_mov_b32_e32 v1, 0
	v_mov_b32_e32 v2, s31
	v_cmp_gt_i32_e64 s[4:5], s24, v0
	ds_write_b32 v2, v1 offset:4
	s_and_saveexec_b64 s[6:7], s[4:5]
	s_cbranch_execz .LBB10_46
; %bb.37:
	v_xad_u32 v1, v0, -1, s24
	s_movk_i32 s8, 0xff
	v_cmp_lt_u32_e32 vcc, s8, v1
	s_mov_b64 s[10:11], 0
                                        ; implicit-def: $vgpr2
	s_and_saveexec_b64 s[8:9], vcc
	s_xor_b64 s[8:9], exec, s[8:9]
	s_cbranch_execnz .LBB10_40
; %bb.38:
	s_or_saveexec_b64 s[8:9], s[8:9]
	v_mov_b32_e32 v1, s16
	s_xor_b64 exec, exec, s[8:9]
	s_cbranch_execnz .LBB10_43
.LBB10_39:
	s_or_b64 exec, exec, s[8:9]
	s_and_b64 exec, exec, s[10:11]
	s_cbranch_execnz .LBB10_44
	s_branch .LBB10_46
.LBB10_40:
	v_lshrrev_b32_e32 v1, 8, v1
	v_add_u32_e32 v6, 1, v1
	v_and_b32_e32 v7, 0x1fffffe, v6
	v_add_u32_e32 v1, 0x100, v0
	v_lshlrev_b32_e32 v2, 2, v0
	v_add3_u32 v12, s31, v2, 8
	v_mov_b32_e32 v13, s41
	v_mov_b32_e32 v3, 0
	;; [unrolled: 1-line block ×3, first 2 shown]
	v_pk_mov_b32 v[4:5], v[0:1], v[0:1] op_sel:[0,1]
.LBB10_41:                              ; =>This Inner Loop Header: Depth=1
	v_mov_b32_e32 v2, v4
	v_lshlrev_b64 v[18:19], 2, v[2:3]
	v_mov_b32_e32 v2, v5
	v_add_co_u32_e32 v18, vcc, s40, v18
	v_addc_co_u32_e32 v19, vcc, v13, v19, vcc
	v_lshlrev_b64 v[20:21], 2, v[2:3]
	v_add_co_u32_e32 v20, vcc, s40, v20
	v_addc_co_u32_e32 v21, vcc, v13, v21, vcc
	global_load_dword v1, v[18:19], off
	global_load_dword v2, v[20:21], off
	v_add_u32_e32 v16, -2, v16
	v_cmp_eq_u32_e32 vcc, 0, v16
	v_add_u32_e32 v4, 0x200, v4
	v_add_u32_e32 v5, 0x200, v5
	s_or_b64 s[10:11], vcc, s[10:11]
	s_waitcnt vmcnt(0)
	ds_write2st64_b32 v12, v1, v2 offset1:4
	v_add_u32_e32 v12, 0x800, v12
	s_andn2_b64 exec, exec, s[10:11]
	s_cbranch_execnz .LBB10_41
; %bb.42:
	s_or_b64 exec, exec, s[10:11]
	v_cmp_ne_u32_e32 vcc, v6, v7
	v_lshl_add_u32 v2, v7, 8, v0
	s_and_b64 s[10:11], vcc, exec
	s_or_saveexec_b64 s[8:9], s[8:9]
	v_mov_b32_e32 v1, s16
	s_xor_b64 exec, exec, s[8:9]
	s_cbranch_execz .LBB10_39
.LBB10_43:
	v_mov_b32_e32 v1, s16
	s_or_b64 s[10:11], s[10:11], exec
	v_mov_b32_e32 v2, v0
	s_or_b64 exec, exec, s[8:9]
	s_and_b64 exec, exec, s[10:11]
	s_cbranch_execz .LBB10_46
.LBB10_44:
	v_mov_b32_e32 v3, 0
	v_lshlrev_b64 v[4:5], 2, v[2:3]
	v_lshl_add_u32 v1, v2, 2, v1
	v_mov_b32_e32 v3, s41
	v_add_co_u32_e32 v4, vcc, s40, v4
	v_add3_u32 v1, v1, 0, 8
	v_addc_co_u32_e32 v5, vcc, v3, v5, vcc
	s_mov_b64 s[8:9], 0
.LBB10_45:                              ; =>This Inner Loop Header: Depth=1
	global_load_dword v3, v[4:5], off
	v_add_co_u32_e32 v4, vcc, 0x400, v4
	v_add_u32_e32 v2, 0x100, v2
	v_addc_co_u32_e32 v5, vcc, 0, v5, vcc
	v_cmp_le_i32_e32 vcc, s24, v2
	s_or_b64 s[8:9], vcc, s[8:9]
	s_waitcnt vmcnt(0)
	ds_write_b32 v1, v3
	v_add_u32_e32 v1, 0x400, v1
	s_andn2_b64 exec, exec, s[8:9]
	s_cbranch_execnz .LBB10_45
.LBB10_46:
	s_or_b64 exec, exec, s[6:7]
	s_add_i32 s56, s31, 4
	s_cmp_lg_u32 s30, 0
	s_waitcnt lgkmcnt(0)
	s_barrier
	s_cbranch_scc1 .LBB10_57
; %bb.47:
	s_mov_b32 s30, 0
	s_cmp_lt_i32 s24, 1
	v_mov_b32_e32 v2, 0
	s_cbranch_scc1 .LBB10_54
; %bb.48:
	v_lshlrev_b32_e32 v2, 2, v9
	v_and_b32_e32 v3, 0xc0, v2
	v_cmp_eq_u32_e32 vcc, 0, v9
	s_add_i32 s34, s17, -1
	v_add_u32_e32 v1, -4, v3
	v_cmp_lt_u32_e64 s[6:7], 15, v9
	v_add_u32_e32 v3, 0xffffffbc, v3
	v_cmp_lt_u32_e64 s[8:9], 31, v9
	v_add_u32_e32 v4, 0, v2
	s_branch .LBB10_50
.LBB10_49:                              ;   in Loop: Header=BB10_50 Depth=1
	s_or_b64 exec, exec, s[28:29]
	s_add_i32 s30, s30, 64
	s_cmp_lt_i32 s30, s24
	v_add_u32_e32 v4, 0x100, v4
	s_waitcnt lgkmcnt(0)
	s_cbranch_scc0 .LBB10_54
.LBB10_50:                              ; =>This Inner Loop Header: Depth=1
	ds_read_b32 v7, v4 offset:4
	v_mov_b32_e32 v2, s30
	v_add_u32_e32 v5, s16, v4
	ds_read_b32 v6, v5 offset:8
	v_cndmask_b32_e32 v2, 0, v2, vcc
	s_waitcnt lgkmcnt(1)
	v_add_u32_e32 v7, s34, v7
	v_lshlrev_b32_e32 v2, 2, v2
	v_mul_hi_u32 v13, v7, s18
	v_add_u32_e32 v12, 0, v2
	v_add_u32_e32 v7, v7, v13
	v_lshrrev_b32_e32 v13, s19, v7
	v_add_u32_e32 v2, s56, v2
	ds_read_b32 v12, v12
	ds_read_b32 v7, v2
	v_mul_lo_u32 v2, v13, s17
	s_waitcnt lgkmcnt(2)
	v_cmp_ne_u32_e64 s[10:11], 0, v6
	v_cndmask_b32_e64 v2, 0, v2, s[10:11]
	s_waitcnt lgkmcnt(1)
	v_add_u32_e32 v2, v2, v12
	v_add_u32_e32 v13, s30, v9
	v_cmp_gt_i32_e64 s[10:11], s24, v13
	v_add_u32_dpp v2, v2, v2 row_shr:1 row_mask:0xf bank_mask:0xf bound_ctrl:1
	s_nop 1
	v_add_u32_dpp v2, v2, v2 row_shr:2 row_mask:0xf bank_mask:0xf bound_ctrl:1
	s_nop 1
	;; [unrolled: 2-line block ×3, first 2 shown]
	v_add_u32_dpp v2, v2, v2 row_shr:8 row_mask:0xf bank_mask:0xf bound_ctrl:1
	ds_bpermute_b32 v12, v1, v2
	s_waitcnt lgkmcnt(0)
	v_cndmask_b32_e64 v12, 0, v12, s[6:7]
	v_add_u32_e32 v2, v2, v12
	ds_bpermute_b32 v12, v3, v2
	s_waitcnt lgkmcnt(0)
	v_cndmask_b32_e64 v12, 0, v12, s[8:9]
	v_add_u32_e32 v2, v2, v12
	s_and_saveexec_b64 s[28:29], s[10:11]
	s_cbranch_execz .LBB10_52
; %bb.51:                               ;   in Loop: Header=BB10_50 Depth=1
	ds_write_b32 v4, v2 offset:4
.LBB10_52:                              ;   in Loop: Header=BB10_50 Depth=1
	s_or_b64 exec, exec, s[28:29]
	v_add_u32_e32 v6, v6, v7
	s_nop 1
	v_add_u32_dpp v6, v6, v6 row_shr:1 row_mask:0xf bank_mask:0xf bound_ctrl:1
	s_nop 1
	v_add_u32_dpp v6, v6, v6 row_shr:2 row_mask:0xf bank_mask:0xf bound_ctrl:1
	;; [unrolled: 2-line block ×4, first 2 shown]
	ds_bpermute_b32 v7, v1, v6
	s_waitcnt lgkmcnt(0)
	v_cndmask_b32_e64 v7, 0, v7, s[6:7]
	v_add_u32_e32 v6, v7, v6
	ds_bpermute_b32 v7, v3, v6
	s_and_saveexec_b64 s[28:29], s[10:11]
	s_cbranch_execz .LBB10_49
; %bb.53:                               ;   in Loop: Header=BB10_50 Depth=1
	s_waitcnt lgkmcnt(0)
	v_cndmask_b32_e64 v7, 0, v7, s[8:9]
	v_add_u32_e32 v6, v7, v6
	ds_write_b32 v5, v6 offset:8
	s_branch .LBB10_49
.LBB10_54:
	v_add_u32_e32 v1, s30, v9
	v_subrev_u32_e32 v1, 63, v1
	v_cmp_eq_u32_e32 vcc, s24, v1
	s_and_saveexec_b64 s[6:7], vcc
	s_cbranch_execz .LBB10_56
; %bb.55:
	v_mov_b32_e32 v1, 0
	v_mov_b32_e32 v3, s33
	global_store_dwordx2 v1, v[2:3], s[50:51]
.LBB10_56:
	s_or_b64 exec, exec, s[6:7]
.LBB10_57:
	s_cmp_eq_u64 s[14:15], 0
	s_barrier
	s_cbranch_scc1 .LBB10_64
; %bb.58:
	s_mul_i32 s28, s33, s20
	v_cmp_gt_i32_e32 vcc, s28, v0
	s_and_saveexec_b64 s[8:9], vcc
	s_cbranch_execz .LBB10_63
; %bb.59:
	v_lshlrev_b32_e32 v1, 2, v0
	v_mov_b32_e32 v3, s37
	v_add_co_u32_e32 v2, vcc, s36, v1
	v_addc_co_u32_e32 v3, vcc, 0, v3, vcc
	v_mov_b32_e32 v5, s15
	v_add_co_u32_e32 v4, vcc, s14, v1
	v_addc_co_u32_e32 v5, vcc, 0, v5, vcc
	s_mov_b64 s[10:11], 0
	v_mov_b32_e32 v1, s41
	v_mov_b32_e32 v12, v0
	s_branch .LBB10_61
.LBB10_60:                              ;   in Loop: Header=BB10_61 Depth=1
	s_or_b64 exec, exec, s[6:7]
	v_add_co_u32_e32 v2, vcc, 0x400, v2
	v_add_u32_e32 v12, 0x100, v12
	v_addc_co_u32_e32 v3, vcc, 0, v3, vcc
	s_waitcnt lgkmcnt(0)
	global_store_dword v[4:5], v7, off
	v_add_co_u32_e32 v4, vcc, 0x400, v4
	v_cmp_le_i32_e64 s[6:7], s28, v12
	s_or_b64 s[10:11], s[6:7], s[10:11]
	v_addc_co_u32_e32 v5, vcc, 0, v5, vcc
	s_andn2_b64 exec, exec, s[10:11]
	s_cbranch_execz .LBB10_63
.LBB10_61:                              ; =>This Inner Loop Header: Depth=1
	global_load_dword v6, v[2:3], off
	s_waitcnt vmcnt(0)
	v_ashrrev_i32_e32 v7, 31, v6
	v_lshlrev_b64 v[16:17], 2, v[6:7]
	v_add_co_u32_e32 v16, vcc, s40, v16
	v_addc_co_u32_e32 v17, vcc, v1, v17, vcc
	global_load_dword v7, v[16:17], off
	s_waitcnt vmcnt(0)
	v_cmp_ne_u32_e32 vcc, 0, v7
	v_mov_b32_e32 v7, -1
	s_and_saveexec_b64 s[6:7], vcc
	s_cbranch_execz .LBB10_60
; %bb.62:                               ;   in Loop: Header=BB10_61 Depth=1
	v_lshl_add_u32 v6, v6, 2, s56
	ds_read_b32 v7, v6
	s_branch .LBB10_60
.LBB10_63:
	s_or_b64 exec, exec, s[8:9]
	s_barrier
.LBB10_64:
	s_and_saveexec_b64 s[8:9], s[4:5]
	s_cbranch_execz .LBB10_71
; %bb.65:
	s_mov_b64 s[10:11], 0
	v_mov_b32_e32 v3, 0
	v_mov_b32_e32 v4, v0
	s_branch .LBB10_67
.LBB10_66:                              ;   in Loop: Header=BB10_67 Depth=1
	s_or_b64 exec, exec, s[14:15]
	v_add_u32_e32 v4, 0x100, v4
	v_cmp_le_i32_e32 vcc, s24, v4
	s_or_b64 s[10:11], vcc, s[10:11]
	s_andn2_b64 exec, exec, s[10:11]
	s_cbranch_execz .LBB10_71
.LBB10_67:                              ; =>This Loop Header: Depth=1
                                        ;     Child Loop BB10_70 Depth 2
	s_waitcnt lgkmcnt(1)
	v_lshlrev_b32_e32 v1, 2, v4
	v_add_u32_e32 v2, 0, v1
	ds_read2_b32 v[6:7], v2 offset1:1
	v_add_u32_e32 v2, s56, v1
	ds_read_b32 v1, v2
	s_waitcnt lgkmcnt(1)
	v_cmp_ne_u32_e32 vcc, v6, v7
	ds_write_b32 v2, v6
	s_and_saveexec_b64 s[14:15], vcc
	s_cbranch_execz .LBB10_66
; %bb.68:                               ;   in Loop: Header=BB10_67 Depth=1
	v_mov_b32_e32 v5, v3
	v_lshlrev_b64 v[12:13], 2, v[4:5]
	v_mov_b32_e32 v2, s41
	v_add_co_u32_e32 v12, vcc, s40, v12
	v_addc_co_u32_e32 v13, vcc, v2, v13, vcc
	global_load_dword v2, v[12:13], off
	v_cmp_lt_i32_e64 s[6:7], v6, v7
	s_waitcnt vmcnt(0)
	v_cmp_ne_u32_e32 vcc, 0, v2
	s_and_b64 s[6:7], s[6:7], vcc
	s_and_b64 exec, exec, s[6:7]
	s_cbranch_execz .LBB10_66
; %bb.69:                               ;   in Loop: Header=BB10_67 Depth=1
	s_mov_b64 s[6:7], 0
.LBB10_70:                              ;   Parent Loop BB10_67 Depth=1
                                        ; =>  This Inner Loop Header: Depth=2
	v_mul_hi_u32 v2, s18, v6
	v_add_u32_e32 v2, v6, v2
	v_add_u32_e32 v6, s17, v6
	v_lshrrev_b32_e32 v2, s19, v2
	v_cmp_ge_i32_e32 vcc, v6, v7
	v_lshlrev_b64 v[12:13], 2, v[2:3]
	v_mov_b32_e32 v5, s49
	s_or_b64 s[6:7], vcc, s[6:7]
	v_add_co_u32_e32 v12, vcc, s48, v12
	v_addc_co_u32_e32 v13, vcc, v5, v13, vcc
	s_waitcnt lgkmcnt(1)
	global_store_dword v[12:13], v1, off
	s_andn2_b64 exec, exec, s[6:7]
	s_cbranch_execnz .LBB10_70
	s_branch .LBB10_66
.LBB10_71:
	s_or_b64 exec, exec, s[8:9]
	s_waitcnt lgkmcnt(1)
	v_mov_b32_e32 v1, s31
	s_waitcnt lgkmcnt(0)
	s_barrier
	ds_read_b32 v1, v1
	s_add_i32 s6, s31, s16
	v_mov_b32_e32 v2, s6
	s_andn2_b64 vcc, exec, s[12:13]
	s_waitcnt lgkmcnt(0)
	ds_write_b32 v2, v1 offset:4
	s_cbranch_vccnz .LBB10_100
; %bb.72:
	s_sub_i32 s23, s25, s23
	s_add_u32 s59, s44, -4
	s_addc_u32 s60, s45, -1
	v_and_b32_e32 v1, 8, v9
	s_add_u32 s61, s38, -4
	v_cmp_eq_u32_e64 s[8:9], 0, v1
	v_lshrrev_b32_e32 v1, 8, v8
	s_addc_u32 s62, s39, -1
	v_add_u32_e32 v3, 1, v1
	s_add_u32 s63, s46, -4
	s_mov_b32 s19, 0
	v_and_b32_e32 v18, 0x1fffffe, v3
	s_addc_u32 s64, s47, -1
	s_lshl_b32 s34, s24, 3
	s_mov_b32 s18, s26
	s_mov_b32 s14, s21
	s_mov_b32 s15, s19
	v_lshlrev_b32_e32 v16, 2, v0
	s_movk_i32 s10, 0xff
	v_lshl_add_u32 v2, v18, 8, v0
	v_cmp_ne_u32_e64 s[12:13], v3, v18
	s_add_i32 s16, s34, 0
	v_mov_b32_e32 v5, 0
	v_mov_b32_e32 v4, v0
	v_add3_u32 v3, v11, s34, v10
	s_lshl_b32 s67, s24, 5
	v_cmp_gt_i32_e32 vcc, s55, v0
	v_cmp_gt_i32_e64 s[6:7], s52, v15
	v_or_b32_e32 v17, 28, v16
	v_cmp_lt_u32_e64 s[10:11], s10, v8
	v_add_u32_e32 v1, 0x100, v0
	s_mov_b32 s57, s27
	s_mov_b32 s58, s23
	v_add_u32_e32 v19, s16, v16
	s_lshl_b32 s65, s23, 2
	s_lshl_b64 s[28:29], s[18:19], 8
	s_sub_i32 s66, 0, s20
	v_pk_mov_b32 v[6:7], v[4:5], v[4:5] op_sel:[0,1]
	v_mad_u64_u32 v[8:9], s[16:17], v0, s21, 0
	s_lshl_b64 s[30:31], s[14:15], 8
	v_mul_lo_u32 v20, s20, v15
	s_lshl_b32 s21, s20, 3
	v_add3_u32 v21, v3, 0, 8
	s_add_i32 s67, s67, 32
	v_lshlrev_b32_e32 v22, 2, v2
	s_mov_b32 s68, 0x4020100
	s_mov_b32 s69, s19
	s_branch .LBB10_74
.LBB10_73:                              ;   in Loop: Header=BB10_74 Depth=1
	s_or_b64 exec, exec, s[34:35]
	s_add_i32 s69, s69, s52
	s_add_i32 s19, s19, s55
	s_cmp_ge_i32 s69, s33
	v_add_u32_e32 v20, s55, v20
	s_waitcnt lgkmcnt(0)
	s_barrier
	s_cbranch_scc1 .LBB10_100
.LBB10_74:                              ; =>This Loop Header: Depth=1
                                        ;     Child Loop BB10_77 Depth 2
                                        ;     Child Loop BB10_83 Depth 2
                                        ;     Child Loop BB10_87 Depth 2
                                        ;     Child Loop BB10_94 Depth 2
                                        ;       Child Loop BB10_98 Depth 3
	s_and_saveexec_b64 s[16:17], s[0:1]
	s_cbranch_execz .LBB10_84
; %bb.75:                               ;   in Loop: Header=BB10_74 Depth=1
	s_mov_b64 s[14:15], -1
	v_mov_b32_e32 v23, v0
	v_mov_b32_e32 v3, v16
	v_pk_mov_b32 v[12:13], v[6:7], v[6:7] op_sel:[0,1]
	s_and_saveexec_b64 s[34:35], s[10:11]
	s_cbranch_execz .LBB10_81
; %bb.76:                               ;   in Loop: Header=BB10_74 Depth=1
	s_mov_b64 s[38:39], 0
	v_mov_b32_e32 v3, v18
	v_mov_b32_e32 v4, v19
	v_pk_mov_b32 v[10:11], v[0:1], v[0:1] op_sel:[0,1]
.LBB10_77:                              ;   Parent Loop BB10_74 Depth=1
                                        ; =>  This Inner Loop Header: Depth=2
	v_mul_hi_u32 v12, s18, v10
	v_mul_hi_u32 v13, s26, v11
	v_add_u32_e32 v13, v11, v13
	v_add_u32_e32 v12, v10, v12
	v_add_u32_e32 v3, -2, v3
	v_lshrrev_b32_e32 v12, s57, v12
	v_lshrrev_b32_e32 v13, s27, v13
	v_cmp_eq_u32_e64 s[14:15], 0, v3
	v_mul_lo_u32 v13, v13, s58
	v_mul_lo_u32 v12, v12, s23
	v_add_u32_e32 v11, 0x200, v11
	v_add_u32_e32 v10, 0x200, v10
	s_or_b64 s[38:39], s[14:15], s[38:39]
	v_lshl_add_u32 v12, v12, 2, v4
	v_lshl_add_u32 v13, v13, 2, v4
	v_add_u32_e32 v4, 0x800, v4
	ds_write_b32 v12, v5 offset:8
	ds_write_b32 v13, v5 offset:1032
	s_andn2_b64 exec, exec, s[38:39]
	s_cbranch_execnz .LBB10_77
; %bb.78:                               ;   in Loop: Header=BB10_74 Depth=1
	s_or_b64 exec, exec, s[38:39]
	s_mov_b64 s[14:15], 0
                                        ; implicit-def: $vgpr12_vgpr13
	s_and_saveexec_b64 s[38:39], s[12:13]
	s_xor_b64 s[38:39], exec, s[38:39]
; %bb.79:                               ;   in Loop: Header=BB10_74 Depth=1
	v_mov_b32_e32 v3, v5
	s_mov_b64 s[14:15], exec
	v_pk_mov_b32 v[12:13], v[2:3], v[2:3] op_sel:[0,1]
; %bb.80:                               ;   in Loop: Header=BB10_74 Depth=1
	s_or_b64 exec, exec, s[38:39]
	s_orn2_b64 s[14:15], s[14:15], exec
	v_mov_b32_e32 v23, v2
	v_mov_b32_e32 v3, v22
.LBB10_81:                              ;   in Loop: Header=BB10_74 Depth=1
	s_or_b64 exec, exec, s[34:35]
	s_and_b64 exec, exec, s[14:15]
	s_cbranch_execz .LBB10_84
; %bb.82:                               ;   in Loop: Header=BB10_74 Depth=1
	v_mad_u64_u32 v[10:11], s[14:15], s18, v12, 0
	v_mov_b32_e32 v12, v11
	v_mad_u64_u32 v[12:13], s[14:15], s18, v13, v[12:13]
	v_add_u32_e32 v4, s54, v3
	v_mov_b32_e32 v3, v12
	s_mov_b64 s[34:35], 0
.LBB10_83:                              ;   Parent Loop BB10_74 Depth=1
                                        ; =>  This Inner Loop Header: Depth=2
	v_mov_b32_e32 v12, s29
	v_add_co_u32_e64 v10, s[14:15], s28, v10
	v_add_u32_e32 v11, v23, v3
	v_add_u32_e32 v23, 0x100, v23
	v_addc_co_u32_e64 v3, s[14:15], v3, v12, s[14:15]
	v_lshrrev_b32_e32 v11, s27, v11
	v_cmp_le_i32_e64 s[14:15], s53, v23
	v_mad_u64_u32 v[12:13], s[38:39], s65, v11, v[4:5]
	v_add_u32_e32 v4, 0x400, v4
	s_or_b64 s[34:35], s[14:15], s[34:35]
	ds_write_b32 v12, v5
	s_andn2_b64 exec, exec, s[34:35]
	s_cbranch_execnz .LBB10_83
.LBB10_84:                              ;   in Loop: Header=BB10_74 Depth=1
	s_or_b64 exec, exec, s[16:17]
	s_waitcnt lgkmcnt(0)
	s_barrier
	s_and_saveexec_b64 s[16:17], vcc
	s_cbranch_execz .LBB10_89
; %bb.85:                               ;   in Loop: Header=BB10_74 Depth=1
	s_mov_b64 s[34:35], 0
	v_pk_mov_b32 v[10:11], v[8:9], v[8:9] op_sel:[0,1]
	v_mov_b32_e32 v3, v0
	s_branch .LBB10_87
.LBB10_86:                              ;   in Loop: Header=BB10_87 Depth=2
	s_or_b64 exec, exec, s[38:39]
	v_add_u32_e32 v3, 0x100, v3
	v_cmp_le_i32_e64 s[14:15], s55, v3
	v_mov_b32_e32 v4, s31
	s_or_b64 s[34:35], s[14:15], s[34:35]
	v_add_co_u32_e64 v10, s[14:15], s30, v10
	v_addc_co_u32_e64 v11, s[14:15], v11, v4, s[14:15]
	s_andn2_b64 exec, exec, s[34:35]
	s_cbranch_execz .LBB10_89
.LBB10_87:                              ;   Parent Loop BB10_74 Depth=1
                                        ; =>  This Inner Loop Header: Depth=2
	v_add_u32_e32 v4, v3, v11
	v_lshrrev_b32_e32 v4, s22, v4
	v_add_u32_e32 v12, s69, v4
	v_cmp_gt_i32_e64 s[14:15], s33, v12
	s_and_saveexec_b64 s[38:39], s[14:15]
	s_cbranch_execz .LBB10_86
; %bb.88:                               ;   in Loop: Header=BB10_87 Depth=2
	v_add_u32_e32 v12, s19, v3
	v_ashrrev_i32_e32 v13, 31, v12
	v_lshlrev_b64 v[12:13], 2, v[12:13]
	v_mov_b32_e32 v23, s37
	v_add_co_u32_e64 v12, s[14:15], s36, v12
	v_addc_co_u32_e64 v13, s[14:15], v23, v13, s[14:15]
	global_load_dword v12, v[12:13], off
	v_mul_lo_u32 v13, s66, v4
	v_mul_lo_u32 v4, v4, s25
	v_lshlrev_b32_e32 v4, 2, v4
	v_add3_u32 v13, v3, v13, 1
	s_waitcnt vmcnt(0)
	v_lshlrev_b32_e32 v12, 2, v12
	v_add3_u32 v4, s54, v12, v4
	ds_write_b32 v4, v13
	s_branch .LBB10_86
.LBB10_89:                              ;   in Loop: Header=BB10_74 Depth=1
	s_or_b64 exec, exec, s[16:17]
	s_waitcnt lgkmcnt(0)
	s_barrier
	s_and_saveexec_b64 s[34:35], s[2:3]
	s_cbranch_execz .LBB10_73
; %bb.90:                               ;   in Loop: Header=BB10_74 Depth=1
	s_mov_b64 s[38:39], 0
	v_mov_b32_e32 v3, v21
	v_mov_b32_e32 v4, v14
	s_branch .LBB10_94
.LBB10_91:                              ;   in Loop: Header=BB10_94 Depth=2
	s_or_b64 exec, exec, s[50:51]
.LBB10_92:                              ;   in Loop: Header=BB10_94 Depth=2
	s_or_b64 exec, exec, s[48:49]
	s_waitcnt lgkmcnt(0)
	ds_write_b32 v10, v11
.LBB10_93:                              ;   in Loop: Header=BB10_94 Depth=2
	s_or_b64 exec, exec, s[42:43]
	v_add_u32_e32 v4, 32, v4
	v_cmp_le_i32_e64 s[14:15], s24, v4
	s_or_b64 s[38:39], s[14:15], s[38:39]
	v_add_u32_e32 v3, 0x80, v3
	s_andn2_b64 exec, exec, s[38:39]
	s_cbranch_execz .LBB10_73
.LBB10_94:                              ;   Parent Loop BB10_74 Depth=1
                                        ; =>  This Loop Header: Depth=2
                                        ;       Child Loop BB10_98 Depth 3
	v_lshlrev_b64 v[10:11], 2, v[4:5]
	v_mov_b32_e32 v12, s41
	v_add_co_u32_e64 v10, s[14:15], s40, v10
	v_addc_co_u32_e64 v11, s[14:15], v12, v11, s[14:15]
	global_load_dword v10, v[10:11], off
	s_waitcnt vmcnt(0)
	v_cmp_ne_u32_e64 s[14:15], 0, v10
	s_and_saveexec_b64 s[42:43], s[14:15]
	s_cbranch_execz .LBB10_93
; %bb.95:                               ;   in Loop: Header=BB10_94 Depth=2
	v_lshl_add_u32 v10, v4, 2, 0
	ds_read_b32 v11, v10
	s_and_saveexec_b64 s[48:49], s[6:7]
	s_cbranch_execz .LBB10_92
; %bb.96:                               ;   in Loop: Header=BB10_94 Depth=2
	s_mov_b64 s[50:51], 0
	v_mov_b32_e32 v12, v3
	v_mov_b32_e32 v13, v20
	;; [unrolled: 1-line block ×3, first 2 shown]
	s_branch .LBB10_98
.LBB10_97:                              ;   in Loop: Header=BB10_98 Depth=3
	s_or_b64 exec, exec, s[16:17]
	ds_bpermute_b32 v24, v17, v24
	v_add_u32_e32 v23, 8, v23
	v_cmp_le_i32_e64 s[14:15], s52, v23
	v_add_u32_e32 v13, s21, v13
	s_or_b64 s[50:51], s[14:15], s[50:51]
	s_waitcnt lgkmcnt(0)
	v_add_u32_e32 v11, v24, v11
	v_add_u32_e32 v12, s67, v12
	s_andn2_b64 exec, exec, s[50:51]
	s_cbranch_execz .LBB10_91
.LBB10_98:                              ;   Parent Loop BB10_74 Depth=1
                                        ;     Parent Loop BB10_94 Depth=2
                                        ; =>    This Inner Loop Header: Depth=3
	ds_read_b32 v25, v12
	s_waitcnt lgkmcnt(0)
	v_cmp_ne_u32_e64 s[14:15], 0, v25
	v_cndmask_b32_e64 v24, 0, 1, s[14:15]
	s_nop 1
	v_mov_b32_dpp v24, v24 row_shr:1 row_mask:0xf bank_mask:0xf bound_ctrl:1
	v_addc_co_u32_e64 v26, s[16:17], 0, v24, s[14:15]
	s_nop 1
	v_mov_b32_dpp v26, v26 row_shr:2 row_mask:0xf bank_mask:0xf bound_ctrl:1
	v_addc_co_u32_e64 v24, s[16:17], v26, v24, s[14:15]
	s_nop 1
	v_add_u32_dpp v24, v24, v24 row_shr:4 row_mask:0xf bank_mask:0xf bound_ctrl:1
	s_nop 1
	v_add_u32_dpp v24, v24, v24 row_shr:8 row_mask:0xf bank_mask:0xf bound_ctrl:1
	s_nop 1
	v_mov_b32_dpp v26, v24 row_newbcast:7 row_mask:0xf bank_mask:0xf bound_ctrl:1
	v_cndmask_b32_e64 v26, v26, 0, s[8:9]
	v_sub_u32_e32 v24, v24, v26
	s_and_saveexec_b64 s[16:17], s[14:15]
	s_cbranch_execz .LBB10_97
; %bb.99:                               ;   in Loop: Header=BB10_98 Depth=3
	v_add_u32_e32 v26, v13, v25
	v_ashrrev_i32_e32 v27, 31, v26
	v_lshlrev_b64 v[26:27], 2, v[26:27]
	v_mov_b32_e32 v28, s62
	v_add_co_u32_e64 v26, s[14:15], s61, v26
	v_addc_co_u32_e64 v27, s[14:15], v28, v27, s[14:15]
	global_load_dword v30, v[26:27], off
	v_add_u32_e32 v26, s69, v23
	v_perm_b32 v25, v25, v26, s68
	v_add_u32_e32 v26, v24, v11
	v_ashrrev_i32_e32 v27, 31, v26
	v_lshlrev_b64 v[26:27], 2, v[26:27]
	v_mov_b32_e32 v29, s60
	v_add_co_u32_e64 v28, s[14:15], s59, v26
	v_add_u32_e32 v25, 0xff000000, v25
	v_addc_co_u32_e64 v29, s[14:15], v29, v27, s[14:15]
	global_store_dword v[28:29], v25, off
	v_mov_b32_e32 v25, s64
	v_add_co_u32_e64 v26, s[14:15], s63, v26
	v_addc_co_u32_e64 v27, s[14:15], v25, v27, s[14:15]
	s_waitcnt vmcnt(1)
	global_store_dword v[26:27], v30, off
	s_branch .LBB10_97
.LBB10_100:
	s_and_saveexec_b64 s[0:1], s[4:5]
	s_cbranch_execz .LBB10_111
; %bb.101:
	s_and_b32 s0, s33, 0xffffff
	s_lshl_b32 s1, s20, 24
	s_or_b32 s4, s0, s1
	s_mov_b32 s5, s4
	s_add_i32 s56, s56, 4
	s_mov_b64 s[2:3], 0
	s_mov_b32 s8, 0
	v_mov_b32_e32 v1, 0
	s_branch .LBB10_103
.LBB10_102:                             ;   in Loop: Header=BB10_103 Depth=1
	s_or_b64 exec, exec, s[12:13]
	v_add_u32_e32 v0, 0x100, v0
	v_cmp_le_i32_e32 vcc, s24, v0
	s_or_b64 s[2:3], vcc, s[2:3]
	s_andn2_b64 exec, exec, s[2:3]
	s_cbranch_execz .LBB10_111
.LBB10_103:                             ; =>This Loop Header: Depth=1
                                        ;     Child Loop BB10_106 Depth 2
                                        ;     Child Loop BB10_110 Depth 2
	v_lshlrev_b32_e32 v2, 2, v0
	v_add_u32_e32 v3, 0, v2
	v_add_u32_e32 v4, s56, v2
	ds_read_b32 v2, v3
	ds_read_b32 v8, v4
	s_waitcnt lgkmcnt(0)
	v_cmp_gt_i32_e32 vcc, v8, v2
	s_and_saveexec_b64 s[12:13], vcc
	s_cbranch_execz .LBB10_102
; %bb.104:                              ;   in Loop: Header=BB10_103 Depth=1
	v_sub_u32_e32 v3, v8, v2
	v_cmp_lt_u32_e32 vcc, 15, v3
	s_mov_b64 s[6:7], -1
	s_and_saveexec_b64 s[0:1], vcc
	s_cbranch_execz .LBB10_108
; %bb.105:                              ;   in Loop: Header=BB10_103 Depth=1
	v_and_b32_e32 v6, -16, v3
	s_mov_b64 s[14:15], 0
	v_mov_b32_e32 v4, v2
	v_mov_b32_e32 v7, v6
.LBB10_106:                             ;   Parent Loop BB10_103 Depth=1
                                        ; =>  This Inner Loop Header: Depth=2
	v_ashrrev_i32_e32 v5, 31, v4
	v_lshlrev_b64 v[14:15], 2, v[4:5]
	v_mov_b32_e32 v5, s45
	v_add_co_u32_e32 v16, vcc, s44, v14
	v_addc_co_u32_e32 v17, vcc, v5, v15, vcc
	s_mov_b32 s6, s4
	s_mov_b32 s7, s5
	v_pk_mov_b32 v[12:13], s[6:7], s[6:7] op_sel:[0,1]
	v_mov_b32_e32 v5, s47
	v_add_co_u32_e32 v14, vcc, s46, v14
	v_pk_mov_b32 v[10:11], s[4:5], s[4:5] op_sel:[0,1]
	v_addc_co_u32_e32 v15, vcc, v5, v15, vcc
	s_mov_b32 s10, s8
	s_mov_b32 s11, s8
	v_add_u32_e32 v7, -16, v7
	global_store_dwordx4 v[16:17], v[10:13], off
	global_store_dwordx4 v[16:17], v[10:13], off offset:16
	global_store_dwordx4 v[16:17], v[10:13], off offset:32
	;; [unrolled: 1-line block ×3, first 2 shown]
	s_mov_b32 s9, s8
	v_pk_mov_b32 v[12:13], s[10:11], s[10:11] op_sel:[0,1]
	v_cmp_eq_u32_e32 vcc, 0, v7
	v_pk_mov_b32 v[10:11], s[8:9], s[8:9] op_sel:[0,1]
	s_or_b64 s[14:15], vcc, s[14:15]
	v_add_u32_e32 v4, 16, v4
	global_store_dwordx4 v[14:15], v[10:13], off
	global_store_dwordx4 v[14:15], v[10:13], off offset:16
	global_store_dwordx4 v[14:15], v[10:13], off offset:32
	;; [unrolled: 1-line block ×3, first 2 shown]
	s_andn2_b64 exec, exec, s[14:15]
	s_cbranch_execnz .LBB10_106
; %bb.107:                              ;   in Loop: Header=BB10_103 Depth=1
	s_or_b64 exec, exec, s[14:15]
	v_cmp_ne_u32_e32 vcc, v3, v6
	v_add_u32_e32 v2, v2, v6
	s_orn2_b64 s[6:7], vcc, exec
.LBB10_108:                             ;   in Loop: Header=BB10_103 Depth=1
	s_or_b64 exec, exec, s[0:1]
	s_and_b64 exec, exec, s[6:7]
	s_cbranch_execz .LBB10_102
; %bb.109:                              ;   in Loop: Header=BB10_103 Depth=1
	v_ashrrev_i32_e32 v3, 31, v2
	v_lshlrev_b64 v[6:7], 2, v[2:3]
	v_mov_b32_e32 v3, s45
	v_add_co_u32_e32 v4, vcc, s44, v6
	v_addc_co_u32_e32 v5, vcc, v3, v7, vcc
	v_mov_b32_e32 v3, s47
	v_add_co_u32_e32 v6, vcc, s46, v6
	v_addc_co_u32_e32 v7, vcc, v3, v7, vcc
	s_mov_b64 s[6:7], 0
.LBB10_110:                             ;   Parent Loop BB10_103 Depth=1
                                        ; =>  This Inner Loop Header: Depth=2
	global_store_dword v[6:7], v1, off
	v_add_co_u32_e32 v6, vcc, 4, v6
	v_mov_b32_e32 v3, s4
	v_add_u32_e32 v2, 1, v2
	v_addc_co_u32_e32 v7, vcc, 0, v7, vcc
	global_store_dword v[4:5], v3, off
	v_cmp_ge_i32_e32 vcc, v2, v8
	v_add_co_u32_e64 v4, s[0:1], 4, v4
	s_or_b64 s[6:7], vcc, s[6:7]
	v_addc_co_u32_e64 v5, vcc, 0, v5, s[0:1]
	s_andn2_b64 exec, exec, s[6:7]
	s_cbranch_execnz .LBB10_110
	s_branch .LBB10_102
.LBB10_111:
	s_endpgm
	.section	.rodata,"a",@progbits
	.p2align	6, 0x0
	.amdhsa_kernel _ZN5aiter22opus_moe_sorting_entryINS_16MoeSortingKernelINS_19MoeSortingProblemExIifLi4ELb0ELb1ELb1ELb1ELi0EEEEENS4_5KargsEEEvT0_
		.amdhsa_group_segment_fixed_size 0
		.amdhsa_private_segment_fixed_size 0
		.amdhsa_kernarg_size 400
		.amdhsa_user_sgpr_count 6
		.amdhsa_user_sgpr_private_segment_buffer 1
		.amdhsa_user_sgpr_dispatch_ptr 0
		.amdhsa_user_sgpr_queue_ptr 0
		.amdhsa_user_sgpr_kernarg_segment_ptr 1
		.amdhsa_user_sgpr_dispatch_id 0
		.amdhsa_user_sgpr_flat_scratch_init 0
		.amdhsa_user_sgpr_kernarg_preload_length 0
		.amdhsa_user_sgpr_kernarg_preload_offset 0
		.amdhsa_user_sgpr_private_segment_size 0
		.amdhsa_uses_dynamic_stack 0
		.amdhsa_system_sgpr_private_segment_wavefront_offset 0
		.amdhsa_system_sgpr_workgroup_id_x 1
		.amdhsa_system_sgpr_workgroup_id_y 0
		.amdhsa_system_sgpr_workgroup_id_z 0
		.amdhsa_system_sgpr_workgroup_info 0
		.amdhsa_system_vgpr_workitem_id 0
		.amdhsa_next_free_vgpr 31
		.amdhsa_next_free_sgpr 70
		.amdhsa_accum_offset 32
		.amdhsa_reserve_vcc 1
		.amdhsa_reserve_flat_scratch 0
		.amdhsa_float_round_mode_32 0
		.amdhsa_float_round_mode_16_64 0
		.amdhsa_float_denorm_mode_32 3
		.amdhsa_float_denorm_mode_16_64 3
		.amdhsa_dx10_clamp 1
		.amdhsa_ieee_mode 1
		.amdhsa_fp16_overflow 0
		.amdhsa_tg_split 0
		.amdhsa_exception_fp_ieee_invalid_op 0
		.amdhsa_exception_fp_denorm_src 0
		.amdhsa_exception_fp_ieee_div_zero 0
		.amdhsa_exception_fp_ieee_overflow 0
		.amdhsa_exception_fp_ieee_underflow 0
		.amdhsa_exception_fp_ieee_inexact 0
		.amdhsa_exception_int_div_zero 0
	.end_amdhsa_kernel
	.section	.text._ZN5aiter22opus_moe_sorting_entryINS_16MoeSortingKernelINS_19MoeSortingProblemExIifLi4ELb0ELb1ELb1ELb1ELi0EEEEENS4_5KargsEEEvT0_,"axG",@progbits,_ZN5aiter22opus_moe_sorting_entryINS_16MoeSortingKernelINS_19MoeSortingProblemExIifLi4ELb0ELb1ELb1ELb1ELi0EEEEENS4_5KargsEEEvT0_,comdat
.Lfunc_end10:
	.size	_ZN5aiter22opus_moe_sorting_entryINS_16MoeSortingKernelINS_19MoeSortingProblemExIifLi4ELb0ELb1ELb1ELb1ELi0EEEEENS4_5KargsEEEvT0_, .Lfunc_end10-_ZN5aiter22opus_moe_sorting_entryINS_16MoeSortingKernelINS_19MoeSortingProblemExIifLi4ELb0ELb1ELb1ELb1ELi0EEEEENS4_5KargsEEEvT0_
                                        ; -- End function
	.section	.AMDGPU.csdata,"",@progbits
; Kernel info:
; codeLenInByte = 5088
; NumSgprs: 74
; NumVgprs: 31
; NumAgprs: 0
; TotalNumVgprs: 31
; ScratchSize: 0
; MemoryBound: 0
; FloatMode: 240
; IeeeMode: 1
; LDSByteSize: 0 bytes/workgroup (compile time only)
; SGPRBlocks: 9
; VGPRBlocks: 3
; NumSGPRsForWavesPerEU: 74
; NumVGPRsForWavesPerEU: 31
; AccumOffset: 32
; Occupancy: 8
; WaveLimiterHint : 1
; COMPUTE_PGM_RSRC2:SCRATCH_EN: 0
; COMPUTE_PGM_RSRC2:USER_SGPR: 6
; COMPUTE_PGM_RSRC2:TRAP_HANDLER: 0
; COMPUTE_PGM_RSRC2:TGID_X_EN: 1
; COMPUTE_PGM_RSRC2:TGID_Y_EN: 0
; COMPUTE_PGM_RSRC2:TGID_Z_EN: 0
; COMPUTE_PGM_RSRC2:TIDIG_COMP_CNT: 0
; COMPUTE_PGM_RSRC3_GFX90A:ACCUM_OFFSET: 7
; COMPUTE_PGM_RSRC3_GFX90A:TG_SPLIT: 0
	.section	.text._ZN5aiter22opus_moe_sorting_entryINS_16MoeSortingKernelINS_19MoeSortingProblemExIifLi2ELb0ELb1ELb1ELb1ELi0EEEEENS4_5KargsEEEvT0_,"axG",@progbits,_ZN5aiter22opus_moe_sorting_entryINS_16MoeSortingKernelINS_19MoeSortingProblemExIifLi2ELb0ELb1ELb1ELb1ELi0EEEEENS4_5KargsEEEvT0_,comdat
	.protected	_ZN5aiter22opus_moe_sorting_entryINS_16MoeSortingKernelINS_19MoeSortingProblemExIifLi2ELb0ELb1ELb1ELb1ELi0EEEEENS4_5KargsEEEvT0_ ; -- Begin function _ZN5aiter22opus_moe_sorting_entryINS_16MoeSortingKernelINS_19MoeSortingProblemExIifLi2ELb0ELb1ELb1ELb1ELi0EEEEENS4_5KargsEEEvT0_
	.globl	_ZN5aiter22opus_moe_sorting_entryINS_16MoeSortingKernelINS_19MoeSortingProblemExIifLi2ELb0ELb1ELb1ELb1ELi0EEEEENS4_5KargsEEEvT0_
	.p2align	8
	.type	_ZN5aiter22opus_moe_sorting_entryINS_16MoeSortingKernelINS_19MoeSortingProblemExIifLi2ELb0ELb1ELb1ELb1ELi0EEEEENS4_5KargsEEEvT0_,@function
_ZN5aiter22opus_moe_sorting_entryINS_16MoeSortingKernelINS_19MoeSortingProblemExIifLi2ELb0ELb1ELb1ELb1ELi0EEEEENS4_5KargsEEEvT0_: ; @_ZN5aiter22opus_moe_sorting_entryINS_16MoeSortingKernelINS_19MoeSortingProblemExIifLi2ELb0ELb1ELb1ELb1ELi0EEEEENS4_5KargsEEEvT0_
; %bb.0:
	s_load_dwordx16 s[36:51], s[4:5], 0x0
	s_load_dwordx4 s[12:15], s[4:5], 0x40
	s_load_dwordx4 s[24:27], s[4:5], 0x54
	s_cmp_eq_u32 s6, 0
	s_waitcnt lgkmcnt(0)
	s_load_dword s33, s[42:43], 0x0
	s_cbranch_scc1 .LBB11_7
; %bb.1:
	s_cmp_eq_u64 s[12:13], 0
	s_mov_b64 s[2:3], 0
	s_cbranch_scc1 .LBB11_6
; %bb.2:
	s_waitcnt lgkmcnt(0)
	s_ashr_i32 s0, s33, 31
	s_mul_i32 s7, s26, s25
	s_mul_hi_i32 s1, s26, s25
	s_mul_i32 s0, s7, s0
	s_mul_hi_u32 s8, s7, s33
	s_add_i32 s0, s8, s0
	s_mul_i32 s1, s1, s33
	s_add_i32 s1, s0, s1
	s_mul_i32 s0, s7, s33
	s_ashr_i32 s7, s1, 31
	s_lshr_b32 s8, s7, 28
	s_add_u32 s0, s0, s8
	s_addc_u32 s1, s1, 0
	v_lshl_add_u32 v1, s6, 8, v0
	s_ashr_i64 s[8:9], s[0:1], 4
	v_add_u32_e32 v2, 0xffffff00, v1
	v_mov_b32_e32 v3, 0
	s_mov_b32 s7, 0
	v_cmp_gt_i64_e32 vcc, s[8:9], v[2:3]
	s_and_saveexec_b64 s[10:11], vcc
	s_cbranch_execz .LBB11_5
; %bb.3:
	s_load_dword s0, s[4:5], 0x90
	v_lshlrev_b64 v[4:5], 4, v[2:3]
	v_mov_b32_e32 v1, s13
	v_add_co_u32_e32 v8, vcc, s12, v4
	s_waitcnt lgkmcnt(0)
	s_lshl_b32 s0, s0, 8
	s_add_i32 s6, s0, 0xffffff00
	s_lshl_b64 s[12:13], s[6:7], 4
	v_pk_mov_b32 v[6:7], v[2:3], v[2:3] op_sel:[0,1]
	v_addc_co_u32_e32 v9, vcc, v1, v5, vcc
	s_mov_b64 s[16:17], 0
	v_mov_b32_e32 v2, v3
	v_mov_b32_e32 v4, v3
	;; [unrolled: 1-line block ×5, first 2 shown]
.LBB11_4:                               ; =>This Inner Loop Header: Depth=1
	v_add_co_u32_e32 v6, vcc, s6, v6
	v_addc_co_u32_e32 v7, vcc, v7, v1, vcc
	global_store_dwordx4 v[8:9], v[2:5], off
	v_add_co_u32_e32 v8, vcc, s12, v8
	v_cmp_le_i64_e64 s[0:1], s[8:9], v[6:7]
	s_or_b64 s[16:17], s[0:1], s[16:17]
	v_addc_co_u32_e32 v9, vcc, v9, v10, vcc
	s_andn2_b64 exec, exec, s[16:17]
	s_cbranch_execnz .LBB11_4
.LBB11_5:
	s_or_b64 exec, exec, s[10:11]
.LBB11_6:
	s_andn2_b64 vcc, exec, s[2:3]
	s_cbranch_vccz .LBB11_8
	s_branch .LBB11_111
.LBB11_7:
.LBB11_8:
	s_load_dwordx8 s[16:23], s[4:5], 0x64
	s_load_dwordx2 s[26:27], s[4:5], 0x84
	v_lshrrev_b32_e32 v1, 6, v0
	s_add_i32 s25, s24, 1
	v_readfirstlane_b32 s30, v1
	s_waitcnt lgkmcnt(0)
	s_add_i32 s52, s16, -2
	s_mul_i32 s53, s52, s24
	v_cmp_gt_i32_e64 s[0:1], s53, v0
	v_xad_u32 v8, v0, -1, s53
	s_and_saveexec_b64 s[2:3], s[0:1]
	s_cbranch_execz .LBB11_18
; %bb.9:
	s_movk_i32 s6, 0xff
	s_mov_b32 s5, 0
	s_mov_b32 s4, s26
	s_sub_i32 s10, s25, s23
	v_cmp_lt_u32_e32 vcc, s6, v8
	s_mov_b64 s[8:9], 0
                                        ; implicit-def: $vgpr1
                                        ; implicit-def: $sgpr11
	s_and_saveexec_b64 s[6:7], vcc
	s_xor_b64 s[6:7], exec, s[6:7]
	s_cbranch_execnz .LBB11_12
; %bb.10:
	s_or_saveexec_b64 s[6:7], s[6:7]
	v_mov_b32_e32 v2, s11
	s_xor_b64 exec, exec, s[6:7]
	s_cbranch_execnz .LBB11_15
.LBB11_11:
	s_or_b64 exec, exec, s[6:7]
	s_and_b64 exec, exec, s[8:9]
	s_cbranch_execnz .LBB11_16
	s_branch .LBB11_18
.LBB11_12:
	v_lshrrev_b32_e32 v1, 8, v8
	v_add_u32_e32 v4, 1, v1
	s_lshl_b32 s11, s24, 3
	v_and_b32_e32 v5, 0x1fffffe, v4
	v_add_u32_e32 v1, 0x100, v0
	s_add_i32 s8, s11, 0
	s_mov_b32 s12, s4
	s_mov_b32 s13, s27
	;; [unrolled: 1-line block ×4, first 2 shown]
	v_lshl_add_u32 v6, v0, 2, s8
	s_mov_b64 s[8:9], 0
	v_mov_b32_e32 v7, 0
	v_mov_b32_e32 v9, v5
	v_pk_mov_b32 v[2:3], v[0:1], v[0:1] op_sel:[0,1]
.LBB11_13:                              ; =>This Inner Loop Header: Depth=1
	v_mul_hi_u32 v1, s4, v2
	v_mul_hi_u32 v10, s12, v3
	v_add_u32_e32 v10, v3, v10
	v_add_u32_e32 v1, v2, v1
	v_add_u32_e32 v9, -2, v9
	v_lshrrev_b32_e32 v1, s13, v1
	v_lshrrev_b32_e32 v10, s28, v10
	v_cmp_eq_u32_e32 vcc, 0, v9
	v_mul_lo_u32 v10, v10, s29
	v_mul_lo_u32 v1, v1, s10
	v_add_u32_e32 v3, 0x200, v3
	v_add_u32_e32 v2, 0x200, v2
	s_or_b64 s[8:9], vcc, s[8:9]
	v_lshl_add_u32 v1, v1, 2, v6
	v_lshl_add_u32 v10, v10, 2, v6
	v_add_u32_e32 v6, 0x800, v6
	ds_write_b32 v1, v7 offset:8
	ds_write_b32 v10, v7 offset:1032
	s_andn2_b64 exec, exec, s[8:9]
	s_cbranch_execnz .LBB11_13
; %bb.14:
	s_or_b64 exec, exec, s[8:9]
	v_cmp_ne_u32_e32 vcc, v4, v5
	v_lshl_add_u32 v1, v5, 8, v0
	s_and_b64 s[8:9], vcc, exec
	s_or_saveexec_b64 s[6:7], s[6:7]
	v_mov_b32_e32 v2, s11
	s_xor_b64 exec, exec, s[6:7]
	s_cbranch_execz .LBB11_11
.LBB11_15:
	s_lshl_b32 s11, s24, 3
	v_mov_b32_e32 v2, s11
	s_or_b64 s[8:9], s[8:9], exec
	v_mov_b32_e32 v1, v0
	s_or_b64 exec, exec, s[6:7]
	s_and_b64 exec, exec, s[8:9]
	s_cbranch_execz .LBB11_18
.LBB11_16:
	v_lshl_add_u32 v2, v1, 2, v2
	v_mad_u64_u32 v[4:5], s[6:7], v1, s4, 0
	s_lshl_b64 s[4:5], s[4:5], 8
	s_lshl_b32 s8, s10, 2
	v_add3_u32 v2, v2, 0, 8
	s_mov_b64 s[6:7], 0
	v_mov_b32_e32 v3, 0
	v_mov_b32_e32 v6, s5
.LBB11_17:                              ; =>This Inner Loop Header: Depth=1
	v_add_co_u32_e32 v4, vcc, s4, v4
	v_add_u32_e32 v7, v1, v5
	v_add_u32_e32 v1, 0x100, v1
	v_addc_co_u32_e32 v5, vcc, v5, v6, vcc
	v_lshrrev_b32_e32 v7, s27, v7
	v_cmp_le_i32_e32 vcc, s53, v1
	v_mad_u64_u32 v[10:11], s[10:11], s8, v7, v[2:3]
	v_add_u32_e32 v2, 0x400, v2
	s_or_b64 s[6:7], vcc, s[6:7]
	ds_write_b32 v10, v3
	s_andn2_b64 exec, exec, s[6:7]
	s_cbranch_execnz .LBB11_17
.LBB11_18:
	s_or_b64 exec, exec, s[2:3]
	s_lshl_b32 s2, s25, 3
	s_add_i32 s54, s2, 0
	s_cmp_gt_i32 s33, 0
	s_mul_i32 s55, s20, s52
	s_mov_b32 s5, 0
	s_cselect_b64 s[12:13], -1, 0
	s_cmp_lt_i32 s33, 1
	v_cmp_gt_i32_e32 vcc, s55, v0
	s_waitcnt lgkmcnt(0)
	s_barrier
	s_cbranch_scc1 .LBB11_26
; %bb.19:
	s_mov_b32 s4, s21
	v_mad_u64_u32 v[2:3], s[2:3], v0, s21, 0
	s_lshl_b64 s[6:7], s[4:5], 8
	v_mov_b32_e32 v5, 0
	s_mov_b32 s4, 0
	s_branch .LBB11_21
.LBB11_20:                              ;   in Loop: Header=BB11_21 Depth=1
	s_or_b64 exec, exec, s[8:9]
	s_add_i32 s4, s4, s52
	s_add_i32 s5, s5, s55
	s_cmp_ge_i32 s4, s33
	s_barrier
	s_cbranch_scc1 .LBB11_26
.LBB11_21:                              ; =>This Loop Header: Depth=1
                                        ;     Child Loop BB11_24 Depth 2
	s_and_saveexec_b64 s[8:9], vcc
	s_cbranch_execz .LBB11_20
; %bb.22:                               ;   in Loop: Header=BB11_21 Depth=1
	s_mov_b64 s[10:11], 0
	v_pk_mov_b32 v[6:7], v[2:3], v[2:3] op_sel:[0,1]
	v_mov_b32_e32 v1, v0
	s_branch .LBB11_24
.LBB11_23:                              ;   in Loop: Header=BB11_24 Depth=2
	s_or_b64 exec, exec, s[28:29]
	v_add_u32_e32 v1, 0x100, v1
	v_cmp_le_i32_e64 s[2:3], s55, v1
	v_mov_b32_e32 v4, s7
	s_or_b64 s[10:11], s[2:3], s[10:11]
	v_add_co_u32_e64 v6, s[2:3], s6, v6
	v_addc_co_u32_e64 v7, s[2:3], v7, v4, s[2:3]
	s_waitcnt lgkmcnt(0)
	s_andn2_b64 exec, exec, s[10:11]
	s_cbranch_execz .LBB11_20
.LBB11_24:                              ;   Parent Loop BB11_21 Depth=1
                                        ; =>  This Inner Loop Header: Depth=2
	v_add_u32_e32 v4, v1, v7
	v_lshrrev_b32_e32 v9, s22, v4
	v_add_u32_e32 v4, s4, v9
	v_cmp_gt_i32_e64 s[2:3], s33, v4
	s_and_saveexec_b64 s[28:29], s[2:3]
	s_cbranch_execz .LBB11_23
; %bb.25:                               ;   in Loop: Header=BB11_24 Depth=2
	v_add_u32_e32 v4, s5, v1
	v_lshlrev_b64 v[10:11], 2, v[4:5]
	v_mov_b32_e32 v4, s37
	v_add_co_u32_e64 v10, s[2:3], s36, v10
	v_addc_co_u32_e64 v11, s[2:3], v4, v11, s[2:3]
	global_load_dword v4, v[10:11], off
	v_mul_lo_u32 v9, v9, s25
	v_lshlrev_b32_e32 v9, 2, v9
	s_waitcnt vmcnt(0)
	v_lshlrev_b32_e32 v4, 2, v4
	v_add3_u32 v4, s54, v4, v9
	ds_read_b32 v9, v4
	s_waitcnt lgkmcnt(0)
	v_add_u32_e32 v9, 1, v9
	ds_write_b32 v4, v9
	s_branch .LBB11_23
.LBB11_26:
	v_cmp_eq_u32_e32 vcc, 0, v0
	s_and_saveexec_b64 s[2:3], vcc
	s_cbranch_execz .LBB11_28
; %bb.27:
	v_mov_b32_e32 v1, 0
	ds_write_b32 v1, v1
.LBB11_28:
	s_or_b64 exec, exec, s[2:3]
	v_mbcnt_lo_u32_b32 v1, -1, 0
	v_and_b32_e32 v15, 7, v0
	v_mbcnt_hi_u32_b32 v9, -1, v1
	v_lshrrev_b32_e32 v14, 3, v0
	v_mul_lo_u32 v1, s25, v15
	v_cmp_gt_i32_e64 s[2:3], s24, v14
	v_lshlrev_b32_e32 v10, 2, v1
	v_lshlrev_b32_e32 v11, 2, v14
	s_and_saveexec_b64 s[8:9], s[2:3]
	s_cbranch_execz .LBB11_36
; %bb.29:
	s_cmp_gt_i32 s16, 2
	s_mul_i32 s6, s24, 40
	v_add3_u32 v4, v10, s6, v11
	s_cselect_b64 s[6:7], -1, 0
	s_lshl_b32 s10, s24, 3
	v_lshlrev_b32_e32 v3, 2, v9
	s_lshl_b32 s16, s24, 6
	v_add3_u32 v5, v10, s10, v11
	v_cndmask_b32_e64 v6, 0, 1, s[6:7]
	v_xor_b32_e32 v1, 4, v3
	v_xor_b32_e32 v2, 8, v3
	;; [unrolled: 1-line block ×3, first 2 shown]
	v_cmp_eq_u32_e64 s[4:5], 0, v15
	v_add3_u32 v4, v4, 0, 40
	s_add_i32 s16, s16, 64
	v_add3_u32 v5, v5, 0, 8
	s_mov_b64 s[10:11], 0
	v_cmp_ne_u32_e64 s[6:7], 1, v6
	v_mov_b32_e32 v6, v14
	s_branch .LBB11_31
.LBB11_30:                              ;   in Loop: Header=BB11_31 Depth=1
	s_or_b64 exec, exec, s[28:29]
	v_add_u32_e32 v6, 32, v6
	v_cmp_le_i32_e32 vcc, s24, v6
	v_add_u32_e32 v4, 0x80, v4
	s_or_b64 s[10:11], vcc, s[10:11]
	v_add_u32_e32 v5, 0x80, v5
	s_andn2_b64 exec, exec, s[10:11]
	s_cbranch_execz .LBB11_36
.LBB11_31:                              ; =>This Loop Header: Depth=1
                                        ;     Child Loop BB11_33 Depth 2
	s_and_b64 vcc, exec, s[6:7]
	v_mov_b32_e32 v7, 0
	s_cbranch_vccnz .LBB11_34
; %bb.32:                               ;   in Loop: Header=BB11_31 Depth=1
	s_mov_b32 s28, 0
	v_mov_b32_e32 v7, 0
	s_mov_b32 s29, 0
.LBB11_33:                              ;   Parent Loop BB11_31 Depth=1
                                        ; =>  This Inner Loop Header: Depth=2
	v_add_u32_e32 v12, s28, v5
	v_add_u32_e32 v13, s28, v4
	ds_read_b32 v12, v12
	ds_read_b32 v13, v13
	s_add_i32 s29, s29, 16
	s_add_i32 s28, s28, s16
	s_cmp_lt_i32 s29, s52
	s_waitcnt lgkmcnt(1)
	ds_bpermute_b32 v16, v1, v12
	s_waitcnt lgkmcnt(1)
	ds_bpermute_b32 v17, v1, v13
	s_waitcnt lgkmcnt(1)
	v_add_u32_e32 v12, v16, v12
	s_waitcnt lgkmcnt(0)
	v_add_u32_e32 v13, v17, v13
	ds_bpermute_b32 v16, v2, v12
	ds_bpermute_b32 v17, v2, v13
	s_waitcnt lgkmcnt(1)
	v_add_u32_e32 v12, v16, v12
	s_waitcnt lgkmcnt(0)
	v_add_u32_e32 v13, v17, v13
	ds_bpermute_b32 v16, v3, v12
	ds_bpermute_b32 v17, v3, v13
	s_waitcnt lgkmcnt(1)
	v_add3_u32 v7, v12, v7, v16
	s_waitcnt lgkmcnt(0)
	v_add3_u32 v7, v7, v13, v17
	s_cbranch_scc1 .LBB11_33
.LBB11_34:                              ;   in Loop: Header=BB11_31 Depth=1
	s_and_saveexec_b64 s[28:29], s[4:5]
	s_cbranch_execz .LBB11_30
; %bb.35:                               ;   in Loop: Header=BB11_31 Depth=1
	v_lshl_add_u32 v12, v6, 2, 0
	ds_write_b32 v12, v7 offset:4
	s_branch .LBB11_30
.LBB11_36:
	s_or_b64 exec, exec, s[8:9]
	s_lshl_b32 s16, s24, 2
	s_add_i32 s31, s16, 0
	v_mov_b32_e32 v1, 0
	v_mov_b32_e32 v2, s31
	v_cmp_gt_i32_e64 s[4:5], s24, v0
	ds_write_b32 v2, v1 offset:4
	s_and_saveexec_b64 s[6:7], s[4:5]
	s_cbranch_execz .LBB11_46
; %bb.37:
	v_xad_u32 v1, v0, -1, s24
	s_movk_i32 s8, 0xff
	v_cmp_lt_u32_e32 vcc, s8, v1
	s_mov_b64 s[10:11], 0
                                        ; implicit-def: $vgpr2
	s_and_saveexec_b64 s[8:9], vcc
	s_xor_b64 s[8:9], exec, s[8:9]
	s_cbranch_execnz .LBB11_40
; %bb.38:
	s_or_saveexec_b64 s[8:9], s[8:9]
	v_mov_b32_e32 v1, s16
	s_xor_b64 exec, exec, s[8:9]
	s_cbranch_execnz .LBB11_43
.LBB11_39:
	s_or_b64 exec, exec, s[8:9]
	s_and_b64 exec, exec, s[10:11]
	s_cbranch_execnz .LBB11_44
	s_branch .LBB11_46
.LBB11_40:
	v_lshrrev_b32_e32 v1, 8, v1
	v_add_u32_e32 v6, 1, v1
	v_and_b32_e32 v7, 0x1fffffe, v6
	v_add_u32_e32 v1, 0x100, v0
	v_lshlrev_b32_e32 v2, 2, v0
	v_add3_u32 v12, s31, v2, 8
	v_mov_b32_e32 v13, s41
	v_mov_b32_e32 v3, 0
	;; [unrolled: 1-line block ×3, first 2 shown]
	v_pk_mov_b32 v[4:5], v[0:1], v[0:1] op_sel:[0,1]
.LBB11_41:                              ; =>This Inner Loop Header: Depth=1
	v_mov_b32_e32 v2, v4
	v_lshlrev_b64 v[18:19], 2, v[2:3]
	v_mov_b32_e32 v2, v5
	v_add_co_u32_e32 v18, vcc, s40, v18
	v_addc_co_u32_e32 v19, vcc, v13, v19, vcc
	v_lshlrev_b64 v[20:21], 2, v[2:3]
	v_add_co_u32_e32 v20, vcc, s40, v20
	v_addc_co_u32_e32 v21, vcc, v13, v21, vcc
	global_load_dword v1, v[18:19], off
	global_load_dword v2, v[20:21], off
	v_add_u32_e32 v16, -2, v16
	v_cmp_eq_u32_e32 vcc, 0, v16
	v_add_u32_e32 v4, 0x200, v4
	v_add_u32_e32 v5, 0x200, v5
	s_or_b64 s[10:11], vcc, s[10:11]
	s_waitcnt vmcnt(0)
	ds_write2st64_b32 v12, v1, v2 offset1:4
	v_add_u32_e32 v12, 0x800, v12
	s_andn2_b64 exec, exec, s[10:11]
	s_cbranch_execnz .LBB11_41
; %bb.42:
	s_or_b64 exec, exec, s[10:11]
	v_cmp_ne_u32_e32 vcc, v6, v7
	v_lshl_add_u32 v2, v7, 8, v0
	s_and_b64 s[10:11], vcc, exec
	s_or_saveexec_b64 s[8:9], s[8:9]
	v_mov_b32_e32 v1, s16
	s_xor_b64 exec, exec, s[8:9]
	s_cbranch_execz .LBB11_39
.LBB11_43:
	v_mov_b32_e32 v1, s16
	s_or_b64 s[10:11], s[10:11], exec
	v_mov_b32_e32 v2, v0
	s_or_b64 exec, exec, s[8:9]
	s_and_b64 exec, exec, s[10:11]
	s_cbranch_execz .LBB11_46
.LBB11_44:
	v_mov_b32_e32 v3, 0
	v_lshlrev_b64 v[4:5], 2, v[2:3]
	v_lshl_add_u32 v1, v2, 2, v1
	v_mov_b32_e32 v3, s41
	v_add_co_u32_e32 v4, vcc, s40, v4
	v_add3_u32 v1, v1, 0, 8
	v_addc_co_u32_e32 v5, vcc, v3, v5, vcc
	s_mov_b64 s[8:9], 0
.LBB11_45:                              ; =>This Inner Loop Header: Depth=1
	global_load_dword v3, v[4:5], off
	v_add_co_u32_e32 v4, vcc, 0x400, v4
	v_add_u32_e32 v2, 0x100, v2
	v_addc_co_u32_e32 v5, vcc, 0, v5, vcc
	v_cmp_le_i32_e32 vcc, s24, v2
	s_or_b64 s[8:9], vcc, s[8:9]
	s_waitcnt vmcnt(0)
	ds_write_b32 v1, v3
	v_add_u32_e32 v1, 0x400, v1
	s_andn2_b64 exec, exec, s[8:9]
	s_cbranch_execnz .LBB11_45
.LBB11_46:
	s_or_b64 exec, exec, s[6:7]
	s_add_i32 s56, s31, 4
	s_cmp_lg_u32 s30, 0
	s_waitcnt lgkmcnt(0)
	s_barrier
	s_cbranch_scc1 .LBB11_57
; %bb.47:
	s_mov_b32 s30, 0
	s_cmp_lt_i32 s24, 1
	v_mov_b32_e32 v2, 0
	s_cbranch_scc1 .LBB11_54
; %bb.48:
	v_lshlrev_b32_e32 v2, 2, v9
	v_and_b32_e32 v3, 0xc0, v2
	v_cmp_eq_u32_e32 vcc, 0, v9
	s_add_i32 s34, s17, -1
	v_add_u32_e32 v1, -4, v3
	v_cmp_lt_u32_e64 s[6:7], 15, v9
	v_add_u32_e32 v3, 0xffffffbc, v3
	v_cmp_lt_u32_e64 s[8:9], 31, v9
	v_add_u32_e32 v4, 0, v2
	s_branch .LBB11_50
.LBB11_49:                              ;   in Loop: Header=BB11_50 Depth=1
	s_or_b64 exec, exec, s[28:29]
	s_add_i32 s30, s30, 64
	s_cmp_lt_i32 s30, s24
	v_add_u32_e32 v4, 0x100, v4
	s_waitcnt lgkmcnt(0)
	s_cbranch_scc0 .LBB11_54
.LBB11_50:                              ; =>This Inner Loop Header: Depth=1
	ds_read_b32 v7, v4 offset:4
	v_mov_b32_e32 v2, s30
	v_add_u32_e32 v5, s16, v4
	ds_read_b32 v6, v5 offset:8
	v_cndmask_b32_e32 v2, 0, v2, vcc
	s_waitcnt lgkmcnt(1)
	v_add_u32_e32 v7, s34, v7
	v_lshlrev_b32_e32 v2, 2, v2
	v_mul_hi_u32 v13, v7, s18
	v_add_u32_e32 v12, 0, v2
	v_add_u32_e32 v7, v7, v13
	v_lshrrev_b32_e32 v13, s19, v7
	v_add_u32_e32 v2, s56, v2
	ds_read_b32 v12, v12
	ds_read_b32 v7, v2
	v_mul_lo_u32 v2, v13, s17
	s_waitcnt lgkmcnt(2)
	v_cmp_ne_u32_e64 s[10:11], 0, v6
	v_cndmask_b32_e64 v2, 0, v2, s[10:11]
	s_waitcnt lgkmcnt(1)
	v_add_u32_e32 v2, v2, v12
	v_add_u32_e32 v13, s30, v9
	v_cmp_gt_i32_e64 s[10:11], s24, v13
	v_add_u32_dpp v2, v2, v2 row_shr:1 row_mask:0xf bank_mask:0xf bound_ctrl:1
	s_nop 1
	v_add_u32_dpp v2, v2, v2 row_shr:2 row_mask:0xf bank_mask:0xf bound_ctrl:1
	s_nop 1
	;; [unrolled: 2-line block ×3, first 2 shown]
	v_add_u32_dpp v2, v2, v2 row_shr:8 row_mask:0xf bank_mask:0xf bound_ctrl:1
	ds_bpermute_b32 v12, v1, v2
	s_waitcnt lgkmcnt(0)
	v_cndmask_b32_e64 v12, 0, v12, s[6:7]
	v_add_u32_e32 v2, v2, v12
	ds_bpermute_b32 v12, v3, v2
	s_waitcnt lgkmcnt(0)
	v_cndmask_b32_e64 v12, 0, v12, s[8:9]
	v_add_u32_e32 v2, v2, v12
	s_and_saveexec_b64 s[28:29], s[10:11]
	s_cbranch_execz .LBB11_52
; %bb.51:                               ;   in Loop: Header=BB11_50 Depth=1
	ds_write_b32 v4, v2 offset:4
.LBB11_52:                              ;   in Loop: Header=BB11_50 Depth=1
	s_or_b64 exec, exec, s[28:29]
	v_add_u32_e32 v6, v6, v7
	s_nop 1
	v_add_u32_dpp v6, v6, v6 row_shr:1 row_mask:0xf bank_mask:0xf bound_ctrl:1
	s_nop 1
	v_add_u32_dpp v6, v6, v6 row_shr:2 row_mask:0xf bank_mask:0xf bound_ctrl:1
	;; [unrolled: 2-line block ×4, first 2 shown]
	ds_bpermute_b32 v7, v1, v6
	s_waitcnt lgkmcnt(0)
	v_cndmask_b32_e64 v7, 0, v7, s[6:7]
	v_add_u32_e32 v6, v7, v6
	ds_bpermute_b32 v7, v3, v6
	s_and_saveexec_b64 s[28:29], s[10:11]
	s_cbranch_execz .LBB11_49
; %bb.53:                               ;   in Loop: Header=BB11_50 Depth=1
	s_waitcnt lgkmcnt(0)
	v_cndmask_b32_e64 v7, 0, v7, s[8:9]
	v_add_u32_e32 v6, v7, v6
	ds_write_b32 v5, v6 offset:8
	s_branch .LBB11_49
.LBB11_54:
	v_add_u32_e32 v1, s30, v9
	v_subrev_u32_e32 v1, 63, v1
	v_cmp_eq_u32_e32 vcc, s24, v1
	s_and_saveexec_b64 s[6:7], vcc
	s_cbranch_execz .LBB11_56
; %bb.55:
	v_mov_b32_e32 v1, 0
	v_mov_b32_e32 v3, s33
	global_store_dwordx2 v1, v[2:3], s[50:51]
.LBB11_56:
	s_or_b64 exec, exec, s[6:7]
.LBB11_57:
	s_cmp_eq_u64 s[14:15], 0
	s_barrier
	s_cbranch_scc1 .LBB11_64
; %bb.58:
	s_mul_i32 s28, s33, s20
	v_cmp_gt_i32_e32 vcc, s28, v0
	s_and_saveexec_b64 s[8:9], vcc
	s_cbranch_execz .LBB11_63
; %bb.59:
	v_lshlrev_b32_e32 v1, 2, v0
	v_mov_b32_e32 v3, s37
	v_add_co_u32_e32 v2, vcc, s36, v1
	v_addc_co_u32_e32 v3, vcc, 0, v3, vcc
	v_mov_b32_e32 v5, s15
	v_add_co_u32_e32 v4, vcc, s14, v1
	v_addc_co_u32_e32 v5, vcc, 0, v5, vcc
	s_mov_b64 s[10:11], 0
	v_mov_b32_e32 v1, s41
	v_mov_b32_e32 v12, v0
	s_branch .LBB11_61
.LBB11_60:                              ;   in Loop: Header=BB11_61 Depth=1
	s_or_b64 exec, exec, s[6:7]
	v_add_co_u32_e32 v2, vcc, 0x400, v2
	v_add_u32_e32 v12, 0x100, v12
	v_addc_co_u32_e32 v3, vcc, 0, v3, vcc
	s_waitcnt lgkmcnt(0)
	global_store_dword v[4:5], v7, off
	v_add_co_u32_e32 v4, vcc, 0x400, v4
	v_cmp_le_i32_e64 s[6:7], s28, v12
	s_or_b64 s[10:11], s[6:7], s[10:11]
	v_addc_co_u32_e32 v5, vcc, 0, v5, vcc
	s_andn2_b64 exec, exec, s[10:11]
	s_cbranch_execz .LBB11_63
.LBB11_61:                              ; =>This Inner Loop Header: Depth=1
	global_load_dword v6, v[2:3], off
	s_waitcnt vmcnt(0)
	v_ashrrev_i32_e32 v7, 31, v6
	v_lshlrev_b64 v[16:17], 2, v[6:7]
	v_add_co_u32_e32 v16, vcc, s40, v16
	v_addc_co_u32_e32 v17, vcc, v1, v17, vcc
	global_load_dword v7, v[16:17], off
	s_waitcnt vmcnt(0)
	v_cmp_ne_u32_e32 vcc, 0, v7
	v_mov_b32_e32 v7, -1
	s_and_saveexec_b64 s[6:7], vcc
	s_cbranch_execz .LBB11_60
; %bb.62:                               ;   in Loop: Header=BB11_61 Depth=1
	v_lshl_add_u32 v6, v6, 2, s56
	ds_read_b32 v7, v6
	s_branch .LBB11_60
.LBB11_63:
	s_or_b64 exec, exec, s[8:9]
	s_barrier
.LBB11_64:
	s_and_saveexec_b64 s[8:9], s[4:5]
	s_cbranch_execz .LBB11_71
; %bb.65:
	s_mov_b64 s[10:11], 0
	v_mov_b32_e32 v3, 0
	v_mov_b32_e32 v4, v0
	s_branch .LBB11_67
.LBB11_66:                              ;   in Loop: Header=BB11_67 Depth=1
	s_or_b64 exec, exec, s[14:15]
	v_add_u32_e32 v4, 0x100, v4
	v_cmp_le_i32_e32 vcc, s24, v4
	s_or_b64 s[10:11], vcc, s[10:11]
	s_andn2_b64 exec, exec, s[10:11]
	s_cbranch_execz .LBB11_71
.LBB11_67:                              ; =>This Loop Header: Depth=1
                                        ;     Child Loop BB11_70 Depth 2
	s_waitcnt lgkmcnt(1)
	v_lshlrev_b32_e32 v1, 2, v4
	v_add_u32_e32 v2, 0, v1
	ds_read2_b32 v[6:7], v2 offset1:1
	v_add_u32_e32 v2, s56, v1
	ds_read_b32 v1, v2
	s_waitcnt lgkmcnt(1)
	v_cmp_ne_u32_e32 vcc, v6, v7
	ds_write_b32 v2, v6
	s_and_saveexec_b64 s[14:15], vcc
	s_cbranch_execz .LBB11_66
; %bb.68:                               ;   in Loop: Header=BB11_67 Depth=1
	v_mov_b32_e32 v5, v3
	v_lshlrev_b64 v[12:13], 2, v[4:5]
	v_mov_b32_e32 v2, s41
	v_add_co_u32_e32 v12, vcc, s40, v12
	v_addc_co_u32_e32 v13, vcc, v2, v13, vcc
	global_load_dword v2, v[12:13], off
	v_cmp_lt_i32_e64 s[6:7], v6, v7
	s_waitcnt vmcnt(0)
	v_cmp_ne_u32_e32 vcc, 0, v2
	s_and_b64 s[6:7], s[6:7], vcc
	s_and_b64 exec, exec, s[6:7]
	s_cbranch_execz .LBB11_66
; %bb.69:                               ;   in Loop: Header=BB11_67 Depth=1
	s_mov_b64 s[6:7], 0
.LBB11_70:                              ;   Parent Loop BB11_67 Depth=1
                                        ; =>  This Inner Loop Header: Depth=2
	v_mul_hi_u32 v2, s18, v6
	v_add_u32_e32 v2, v6, v2
	v_add_u32_e32 v6, s17, v6
	v_lshrrev_b32_e32 v2, s19, v2
	v_cmp_ge_i32_e32 vcc, v6, v7
	v_lshlrev_b64 v[12:13], 2, v[2:3]
	v_mov_b32_e32 v5, s49
	s_or_b64 s[6:7], vcc, s[6:7]
	v_add_co_u32_e32 v12, vcc, s48, v12
	v_addc_co_u32_e32 v13, vcc, v5, v13, vcc
	s_waitcnt lgkmcnt(1)
	global_store_dword v[12:13], v1, off
	s_andn2_b64 exec, exec, s[6:7]
	s_cbranch_execnz .LBB11_70
	s_branch .LBB11_66
.LBB11_71:
	s_or_b64 exec, exec, s[8:9]
	s_waitcnt lgkmcnt(1)
	v_mov_b32_e32 v1, s31
	s_waitcnt lgkmcnt(0)
	s_barrier
	ds_read_b32 v1, v1
	s_add_i32 s6, s31, s16
	v_mov_b32_e32 v2, s6
	s_andn2_b64 vcc, exec, s[12:13]
	s_waitcnt lgkmcnt(0)
	ds_write_b32 v2, v1 offset:4
	s_cbranch_vccnz .LBB11_100
; %bb.72:
	s_sub_i32 s23, s25, s23
	s_add_u32 s59, s44, -4
	s_addc_u32 s60, s45, -1
	v_and_b32_e32 v1, 8, v9
	s_add_u32 s61, s38, -4
	v_cmp_eq_u32_e64 s[8:9], 0, v1
	v_lshrrev_b32_e32 v1, 8, v8
	s_addc_u32 s62, s39, -1
	v_add_u32_e32 v3, 1, v1
	s_add_u32 s63, s46, -4
	s_mov_b32 s19, 0
	v_and_b32_e32 v18, 0x1fffffe, v3
	s_addc_u32 s64, s47, -1
	s_lshl_b32 s34, s24, 3
	s_mov_b32 s18, s26
	s_mov_b32 s14, s21
	;; [unrolled: 1-line block ×3, first 2 shown]
	v_lshlrev_b32_e32 v16, 2, v0
	s_movk_i32 s10, 0xff
	v_lshl_add_u32 v2, v18, 8, v0
	v_cmp_ne_u32_e64 s[12:13], v3, v18
	s_add_i32 s16, s34, 0
	v_mov_b32_e32 v5, 0
	v_mov_b32_e32 v4, v0
	v_add3_u32 v3, v10, s34, v11
	s_lshl_b32 s67, s24, 5
	v_cmp_gt_i32_e32 vcc, s55, v0
	v_cmp_gt_i32_e64 s[6:7], s52, v15
	v_or_b32_e32 v17, 28, v16
	v_cmp_lt_u32_e64 s[10:11], s10, v8
	v_add_u32_e32 v1, 0x100, v0
	s_mov_b32 s57, s27
	s_mov_b32 s58, s23
	v_add_u32_e32 v19, s16, v16
	s_lshl_b32 s65, s23, 2
	s_lshl_b64 s[28:29], s[18:19], 8
	s_sub_i32 s66, 0, s20
	v_pk_mov_b32 v[6:7], v[4:5], v[4:5] op_sel:[0,1]
	v_mad_u64_u32 v[8:9], s[16:17], v0, s21, 0
	s_lshl_b64 s[30:31], s[14:15], 8
	v_mul_lo_u32 v20, s20, v15
	s_lshl_b32 s21, s20, 3
	v_add3_u32 v21, v3, 0, 8
	s_add_i32 s67, s67, 32
	v_lshlrev_b32_e32 v22, 2, v2
	s_mov_b32 s68, 0x4020100
	s_mov_b32 s69, s19
	s_branch .LBB11_74
.LBB11_73:                              ;   in Loop: Header=BB11_74 Depth=1
	s_or_b64 exec, exec, s[34:35]
	s_add_i32 s69, s69, s52
	s_add_i32 s19, s19, s55
	s_cmp_ge_i32 s69, s33
	v_add_u32_e32 v20, s55, v20
	s_waitcnt lgkmcnt(0)
	s_barrier
	s_cbranch_scc1 .LBB11_100
.LBB11_74:                              ; =>This Loop Header: Depth=1
                                        ;     Child Loop BB11_77 Depth 2
                                        ;     Child Loop BB11_83 Depth 2
                                        ;     Child Loop BB11_87 Depth 2
                                        ;     Child Loop BB11_94 Depth 2
                                        ;       Child Loop BB11_98 Depth 3
	s_and_saveexec_b64 s[16:17], s[0:1]
	s_cbranch_execz .LBB11_84
; %bb.75:                               ;   in Loop: Header=BB11_74 Depth=1
	s_mov_b64 s[14:15], -1
	v_mov_b32_e32 v23, v0
	v_mov_b32_e32 v3, v16
	v_pk_mov_b32 v[12:13], v[6:7], v[6:7] op_sel:[0,1]
	s_and_saveexec_b64 s[34:35], s[10:11]
	s_cbranch_execz .LBB11_81
; %bb.76:                               ;   in Loop: Header=BB11_74 Depth=1
	s_mov_b64 s[38:39], 0
	v_mov_b32_e32 v3, v18
	v_mov_b32_e32 v4, v19
	v_pk_mov_b32 v[10:11], v[0:1], v[0:1] op_sel:[0,1]
.LBB11_77:                              ;   Parent Loop BB11_74 Depth=1
                                        ; =>  This Inner Loop Header: Depth=2
	v_mul_hi_u32 v12, s18, v10
	v_mul_hi_u32 v13, s26, v11
	v_add_u32_e32 v13, v11, v13
	v_add_u32_e32 v12, v10, v12
	v_add_u32_e32 v3, -2, v3
	v_lshrrev_b32_e32 v12, s57, v12
	v_lshrrev_b32_e32 v13, s27, v13
	v_cmp_eq_u32_e64 s[14:15], 0, v3
	v_mul_lo_u32 v13, v13, s58
	v_mul_lo_u32 v12, v12, s23
	v_add_u32_e32 v11, 0x200, v11
	v_add_u32_e32 v10, 0x200, v10
	s_or_b64 s[38:39], s[14:15], s[38:39]
	v_lshl_add_u32 v12, v12, 2, v4
	v_lshl_add_u32 v13, v13, 2, v4
	v_add_u32_e32 v4, 0x800, v4
	ds_write_b32 v12, v5 offset:8
	ds_write_b32 v13, v5 offset:1032
	s_andn2_b64 exec, exec, s[38:39]
	s_cbranch_execnz .LBB11_77
; %bb.78:                               ;   in Loop: Header=BB11_74 Depth=1
	s_or_b64 exec, exec, s[38:39]
	s_mov_b64 s[14:15], 0
                                        ; implicit-def: $vgpr12_vgpr13
	s_and_saveexec_b64 s[38:39], s[12:13]
	s_xor_b64 s[38:39], exec, s[38:39]
; %bb.79:                               ;   in Loop: Header=BB11_74 Depth=1
	v_mov_b32_e32 v3, v5
	s_mov_b64 s[14:15], exec
	v_pk_mov_b32 v[12:13], v[2:3], v[2:3] op_sel:[0,1]
; %bb.80:                               ;   in Loop: Header=BB11_74 Depth=1
	s_or_b64 exec, exec, s[38:39]
	s_orn2_b64 s[14:15], s[14:15], exec
	v_mov_b32_e32 v23, v2
	v_mov_b32_e32 v3, v22
.LBB11_81:                              ;   in Loop: Header=BB11_74 Depth=1
	s_or_b64 exec, exec, s[34:35]
	s_and_b64 exec, exec, s[14:15]
	s_cbranch_execz .LBB11_84
; %bb.82:                               ;   in Loop: Header=BB11_74 Depth=1
	v_mad_u64_u32 v[10:11], s[14:15], s18, v12, 0
	v_mov_b32_e32 v12, v11
	v_mad_u64_u32 v[12:13], s[14:15], s18, v13, v[12:13]
	v_add_u32_e32 v4, s54, v3
	v_mov_b32_e32 v3, v12
	s_mov_b64 s[34:35], 0
.LBB11_83:                              ;   Parent Loop BB11_74 Depth=1
                                        ; =>  This Inner Loop Header: Depth=2
	v_mov_b32_e32 v12, s29
	v_add_co_u32_e64 v10, s[14:15], s28, v10
	v_add_u32_e32 v11, v23, v3
	v_add_u32_e32 v23, 0x100, v23
	v_addc_co_u32_e64 v3, s[14:15], v3, v12, s[14:15]
	v_lshrrev_b32_e32 v11, s27, v11
	v_cmp_le_i32_e64 s[14:15], s53, v23
	v_mad_u64_u32 v[12:13], s[38:39], s65, v11, v[4:5]
	v_add_u32_e32 v4, 0x400, v4
	s_or_b64 s[34:35], s[14:15], s[34:35]
	ds_write_b32 v12, v5
	s_andn2_b64 exec, exec, s[34:35]
	s_cbranch_execnz .LBB11_83
.LBB11_84:                              ;   in Loop: Header=BB11_74 Depth=1
	s_or_b64 exec, exec, s[16:17]
	s_waitcnt lgkmcnt(0)
	s_barrier
	s_and_saveexec_b64 s[16:17], vcc
	s_cbranch_execz .LBB11_89
; %bb.85:                               ;   in Loop: Header=BB11_74 Depth=1
	s_mov_b64 s[34:35], 0
	v_pk_mov_b32 v[10:11], v[8:9], v[8:9] op_sel:[0,1]
	v_mov_b32_e32 v3, v0
	s_branch .LBB11_87
.LBB11_86:                              ;   in Loop: Header=BB11_87 Depth=2
	s_or_b64 exec, exec, s[38:39]
	v_add_u32_e32 v3, 0x100, v3
	v_cmp_le_i32_e64 s[14:15], s55, v3
	v_mov_b32_e32 v4, s31
	s_or_b64 s[34:35], s[14:15], s[34:35]
	v_add_co_u32_e64 v10, s[14:15], s30, v10
	v_addc_co_u32_e64 v11, s[14:15], v11, v4, s[14:15]
	s_andn2_b64 exec, exec, s[34:35]
	s_cbranch_execz .LBB11_89
.LBB11_87:                              ;   Parent Loop BB11_74 Depth=1
                                        ; =>  This Inner Loop Header: Depth=2
	v_add_u32_e32 v4, v3, v11
	v_lshrrev_b32_e32 v4, s22, v4
	v_add_u32_e32 v12, s69, v4
	v_cmp_gt_i32_e64 s[14:15], s33, v12
	s_and_saveexec_b64 s[38:39], s[14:15]
	s_cbranch_execz .LBB11_86
; %bb.88:                               ;   in Loop: Header=BB11_87 Depth=2
	v_add_u32_e32 v12, s19, v3
	v_ashrrev_i32_e32 v13, 31, v12
	v_lshlrev_b64 v[12:13], 2, v[12:13]
	v_mov_b32_e32 v23, s37
	v_add_co_u32_e64 v12, s[14:15], s36, v12
	v_addc_co_u32_e64 v13, s[14:15], v23, v13, s[14:15]
	global_load_dword v12, v[12:13], off
	v_mul_lo_u32 v13, s66, v4
	v_mul_lo_u32 v4, v4, s25
	v_lshlrev_b32_e32 v4, 2, v4
	v_add3_u32 v13, v3, v13, 1
	s_waitcnt vmcnt(0)
	v_lshlrev_b32_e32 v12, 2, v12
	v_add3_u32 v4, s54, v12, v4
	ds_write_b32 v4, v13
	s_branch .LBB11_86
.LBB11_89:                              ;   in Loop: Header=BB11_74 Depth=1
	s_or_b64 exec, exec, s[16:17]
	s_waitcnt lgkmcnt(0)
	s_barrier
	s_and_saveexec_b64 s[34:35], s[2:3]
	s_cbranch_execz .LBB11_73
; %bb.90:                               ;   in Loop: Header=BB11_74 Depth=1
	s_mov_b64 s[38:39], 0
	v_mov_b32_e32 v3, v21
	v_mov_b32_e32 v4, v14
	s_branch .LBB11_94
.LBB11_91:                              ;   in Loop: Header=BB11_94 Depth=2
	s_or_b64 exec, exec, s[50:51]
.LBB11_92:                              ;   in Loop: Header=BB11_94 Depth=2
	s_or_b64 exec, exec, s[48:49]
	s_waitcnt lgkmcnt(0)
	ds_write_b32 v10, v11
.LBB11_93:                              ;   in Loop: Header=BB11_94 Depth=2
	s_or_b64 exec, exec, s[42:43]
	v_add_u32_e32 v4, 32, v4
	v_cmp_le_i32_e64 s[14:15], s24, v4
	s_or_b64 s[38:39], s[14:15], s[38:39]
	v_add_u32_e32 v3, 0x80, v3
	s_andn2_b64 exec, exec, s[38:39]
	s_cbranch_execz .LBB11_73
.LBB11_94:                              ;   Parent Loop BB11_74 Depth=1
                                        ; =>  This Loop Header: Depth=2
                                        ;       Child Loop BB11_98 Depth 3
	v_lshlrev_b64 v[10:11], 2, v[4:5]
	v_mov_b32_e32 v12, s41
	v_add_co_u32_e64 v10, s[14:15], s40, v10
	v_addc_co_u32_e64 v11, s[14:15], v12, v11, s[14:15]
	global_load_dword v10, v[10:11], off
	s_waitcnt vmcnt(0)
	v_cmp_ne_u32_e64 s[14:15], 0, v10
	s_and_saveexec_b64 s[42:43], s[14:15]
	s_cbranch_execz .LBB11_93
; %bb.95:                               ;   in Loop: Header=BB11_94 Depth=2
	v_lshl_add_u32 v10, v4, 2, 0
	ds_read_b32 v11, v10
	s_and_saveexec_b64 s[48:49], s[6:7]
	s_cbranch_execz .LBB11_92
; %bb.96:                               ;   in Loop: Header=BB11_94 Depth=2
	s_mov_b64 s[50:51], 0
	v_mov_b32_e32 v12, v3
	v_mov_b32_e32 v13, v20
	v_mov_b32_e32 v23, v15
	s_branch .LBB11_98
.LBB11_97:                              ;   in Loop: Header=BB11_98 Depth=3
	s_or_b64 exec, exec, s[16:17]
	ds_bpermute_b32 v24, v17, v24
	v_add_u32_e32 v23, 8, v23
	v_cmp_le_i32_e64 s[14:15], s52, v23
	v_add_u32_e32 v13, s21, v13
	s_or_b64 s[50:51], s[14:15], s[50:51]
	s_waitcnt lgkmcnt(0)
	v_add_u32_e32 v11, v24, v11
	v_add_u32_e32 v12, s67, v12
	s_andn2_b64 exec, exec, s[50:51]
	s_cbranch_execz .LBB11_91
.LBB11_98:                              ;   Parent Loop BB11_74 Depth=1
                                        ;     Parent Loop BB11_94 Depth=2
                                        ; =>    This Inner Loop Header: Depth=3
	ds_read_b32 v25, v12
	s_waitcnt lgkmcnt(0)
	v_cmp_ne_u32_e64 s[14:15], 0, v25
	v_cndmask_b32_e64 v24, 0, 1, s[14:15]
	s_nop 1
	v_mov_b32_dpp v24, v24 row_shr:1 row_mask:0xf bank_mask:0xf bound_ctrl:1
	v_addc_co_u32_e64 v26, s[16:17], 0, v24, s[14:15]
	s_nop 1
	v_mov_b32_dpp v26, v26 row_shr:2 row_mask:0xf bank_mask:0xf bound_ctrl:1
	v_addc_co_u32_e64 v24, s[16:17], v26, v24, s[14:15]
	s_nop 1
	v_add_u32_dpp v24, v24, v24 row_shr:4 row_mask:0xf bank_mask:0xf bound_ctrl:1
	s_nop 1
	v_add_u32_dpp v24, v24, v24 row_shr:8 row_mask:0xf bank_mask:0xf bound_ctrl:1
	s_nop 1
	v_mov_b32_dpp v26, v24 row_newbcast:7 row_mask:0xf bank_mask:0xf bound_ctrl:1
	v_cndmask_b32_e64 v26, v26, 0, s[8:9]
	v_sub_u32_e32 v24, v24, v26
	s_and_saveexec_b64 s[16:17], s[14:15]
	s_cbranch_execz .LBB11_97
; %bb.99:                               ;   in Loop: Header=BB11_98 Depth=3
	v_add_u32_e32 v26, v13, v25
	v_ashrrev_i32_e32 v27, 31, v26
	v_lshlrev_b64 v[26:27], 2, v[26:27]
	v_mov_b32_e32 v28, s62
	v_add_co_u32_e64 v26, s[14:15], s61, v26
	v_addc_co_u32_e64 v27, s[14:15], v28, v27, s[14:15]
	global_load_dword v30, v[26:27], off
	v_add_u32_e32 v26, s69, v23
	v_perm_b32 v25, v25, v26, s68
	v_add_u32_e32 v26, v24, v11
	v_ashrrev_i32_e32 v27, 31, v26
	v_lshlrev_b64 v[26:27], 2, v[26:27]
	v_mov_b32_e32 v29, s60
	v_add_co_u32_e64 v28, s[14:15], s59, v26
	v_add_u32_e32 v25, 0xff000000, v25
	v_addc_co_u32_e64 v29, s[14:15], v29, v27, s[14:15]
	global_store_dword v[28:29], v25, off
	v_mov_b32_e32 v25, s64
	v_add_co_u32_e64 v26, s[14:15], s63, v26
	v_addc_co_u32_e64 v27, s[14:15], v25, v27, s[14:15]
	s_waitcnt vmcnt(1)
	global_store_dword v[26:27], v30, off
	s_branch .LBB11_97
.LBB11_100:
	s_and_saveexec_b64 s[0:1], s[4:5]
	s_cbranch_execz .LBB11_111
; %bb.101:
	s_and_b32 s0, s33, 0xffffff
	s_lshl_b32 s1, s20, 24
	s_or_b32 s4, s0, s1
	s_mov_b32 s5, s4
	s_add_i32 s56, s56, 4
	s_mov_b64 s[2:3], 0
	s_mov_b32 s8, 0
	v_mov_b32_e32 v1, 0
	s_branch .LBB11_103
.LBB11_102:                             ;   in Loop: Header=BB11_103 Depth=1
	s_or_b64 exec, exec, s[12:13]
	v_add_u32_e32 v0, 0x100, v0
	v_cmp_le_i32_e32 vcc, s24, v0
	s_or_b64 s[2:3], vcc, s[2:3]
	s_andn2_b64 exec, exec, s[2:3]
	s_cbranch_execz .LBB11_111
.LBB11_103:                             ; =>This Loop Header: Depth=1
                                        ;     Child Loop BB11_106 Depth 2
                                        ;     Child Loop BB11_110 Depth 2
	v_lshlrev_b32_e32 v2, 2, v0
	v_add_u32_e32 v3, 0, v2
	v_add_u32_e32 v4, s56, v2
	ds_read_b32 v2, v3
	ds_read_b32 v8, v4
	s_waitcnt lgkmcnt(0)
	v_cmp_gt_i32_e32 vcc, v8, v2
	s_and_saveexec_b64 s[12:13], vcc
	s_cbranch_execz .LBB11_102
; %bb.104:                              ;   in Loop: Header=BB11_103 Depth=1
	v_sub_u32_e32 v3, v8, v2
	v_cmp_lt_u32_e32 vcc, 15, v3
	s_mov_b64 s[6:7], -1
	s_and_saveexec_b64 s[0:1], vcc
	s_cbranch_execz .LBB11_108
; %bb.105:                              ;   in Loop: Header=BB11_103 Depth=1
	v_and_b32_e32 v6, -16, v3
	s_mov_b64 s[14:15], 0
	v_mov_b32_e32 v4, v2
	v_mov_b32_e32 v7, v6
.LBB11_106:                             ;   Parent Loop BB11_103 Depth=1
                                        ; =>  This Inner Loop Header: Depth=2
	v_ashrrev_i32_e32 v5, 31, v4
	v_lshlrev_b64 v[14:15], 2, v[4:5]
	v_mov_b32_e32 v5, s45
	v_add_co_u32_e32 v16, vcc, s44, v14
	v_addc_co_u32_e32 v17, vcc, v5, v15, vcc
	s_mov_b32 s6, s4
	s_mov_b32 s7, s5
	v_pk_mov_b32 v[12:13], s[6:7], s[6:7] op_sel:[0,1]
	v_mov_b32_e32 v5, s47
	v_add_co_u32_e32 v14, vcc, s46, v14
	v_pk_mov_b32 v[10:11], s[4:5], s[4:5] op_sel:[0,1]
	v_addc_co_u32_e32 v15, vcc, v5, v15, vcc
	s_mov_b32 s10, s8
	s_mov_b32 s11, s8
	v_add_u32_e32 v7, -16, v7
	global_store_dwordx4 v[16:17], v[10:13], off
	global_store_dwordx4 v[16:17], v[10:13], off offset:16
	global_store_dwordx4 v[16:17], v[10:13], off offset:32
	;; [unrolled: 1-line block ×3, first 2 shown]
	s_mov_b32 s9, s8
	v_pk_mov_b32 v[12:13], s[10:11], s[10:11] op_sel:[0,1]
	v_cmp_eq_u32_e32 vcc, 0, v7
	v_pk_mov_b32 v[10:11], s[8:9], s[8:9] op_sel:[0,1]
	s_or_b64 s[14:15], vcc, s[14:15]
	v_add_u32_e32 v4, 16, v4
	global_store_dwordx4 v[14:15], v[10:13], off
	global_store_dwordx4 v[14:15], v[10:13], off offset:16
	global_store_dwordx4 v[14:15], v[10:13], off offset:32
	;; [unrolled: 1-line block ×3, first 2 shown]
	s_andn2_b64 exec, exec, s[14:15]
	s_cbranch_execnz .LBB11_106
; %bb.107:                              ;   in Loop: Header=BB11_103 Depth=1
	s_or_b64 exec, exec, s[14:15]
	v_cmp_ne_u32_e32 vcc, v3, v6
	v_add_u32_e32 v2, v2, v6
	s_orn2_b64 s[6:7], vcc, exec
.LBB11_108:                             ;   in Loop: Header=BB11_103 Depth=1
	s_or_b64 exec, exec, s[0:1]
	s_and_b64 exec, exec, s[6:7]
	s_cbranch_execz .LBB11_102
; %bb.109:                              ;   in Loop: Header=BB11_103 Depth=1
	v_ashrrev_i32_e32 v3, 31, v2
	v_lshlrev_b64 v[6:7], 2, v[2:3]
	v_mov_b32_e32 v3, s45
	v_add_co_u32_e32 v4, vcc, s44, v6
	v_addc_co_u32_e32 v5, vcc, v3, v7, vcc
	v_mov_b32_e32 v3, s47
	v_add_co_u32_e32 v6, vcc, s46, v6
	v_addc_co_u32_e32 v7, vcc, v3, v7, vcc
	s_mov_b64 s[6:7], 0
.LBB11_110:                             ;   Parent Loop BB11_103 Depth=1
                                        ; =>  This Inner Loop Header: Depth=2
	global_store_dword v[6:7], v1, off
	v_add_co_u32_e32 v6, vcc, 4, v6
	v_mov_b32_e32 v3, s4
	v_add_u32_e32 v2, 1, v2
	v_addc_co_u32_e32 v7, vcc, 0, v7, vcc
	global_store_dword v[4:5], v3, off
	v_cmp_ge_i32_e32 vcc, v2, v8
	v_add_co_u32_e64 v4, s[0:1], 4, v4
	s_or_b64 s[6:7], vcc, s[6:7]
	v_addc_co_u32_e64 v5, vcc, 0, v5, s[0:1]
	s_andn2_b64 exec, exec, s[6:7]
	s_cbranch_execnz .LBB11_110
	s_branch .LBB11_102
.LBB11_111:
	s_endpgm
	.section	.rodata,"a",@progbits
	.p2align	6, 0x0
	.amdhsa_kernel _ZN5aiter22opus_moe_sorting_entryINS_16MoeSortingKernelINS_19MoeSortingProblemExIifLi2ELb0ELb1ELb1ELb1ELi0EEEEENS4_5KargsEEEvT0_
		.amdhsa_group_segment_fixed_size 0
		.amdhsa_private_segment_fixed_size 0
		.amdhsa_kernarg_size 400
		.amdhsa_user_sgpr_count 6
		.amdhsa_user_sgpr_private_segment_buffer 1
		.amdhsa_user_sgpr_dispatch_ptr 0
		.amdhsa_user_sgpr_queue_ptr 0
		.amdhsa_user_sgpr_kernarg_segment_ptr 1
		.amdhsa_user_sgpr_dispatch_id 0
		.amdhsa_user_sgpr_flat_scratch_init 0
		.amdhsa_user_sgpr_kernarg_preload_length 0
		.amdhsa_user_sgpr_kernarg_preload_offset 0
		.amdhsa_user_sgpr_private_segment_size 0
		.amdhsa_uses_dynamic_stack 0
		.amdhsa_system_sgpr_private_segment_wavefront_offset 0
		.amdhsa_system_sgpr_workgroup_id_x 1
		.amdhsa_system_sgpr_workgroup_id_y 0
		.amdhsa_system_sgpr_workgroup_id_z 0
		.amdhsa_system_sgpr_workgroup_info 0
		.amdhsa_system_vgpr_workitem_id 0
		.amdhsa_next_free_vgpr 31
		.amdhsa_next_free_sgpr 70
		.amdhsa_accum_offset 32
		.amdhsa_reserve_vcc 1
		.amdhsa_reserve_flat_scratch 0
		.amdhsa_float_round_mode_32 0
		.amdhsa_float_round_mode_16_64 0
		.amdhsa_float_denorm_mode_32 3
		.amdhsa_float_denorm_mode_16_64 3
		.amdhsa_dx10_clamp 1
		.amdhsa_ieee_mode 1
		.amdhsa_fp16_overflow 0
		.amdhsa_tg_split 0
		.amdhsa_exception_fp_ieee_invalid_op 0
		.amdhsa_exception_fp_denorm_src 0
		.amdhsa_exception_fp_ieee_div_zero 0
		.amdhsa_exception_fp_ieee_overflow 0
		.amdhsa_exception_fp_ieee_underflow 0
		.amdhsa_exception_fp_ieee_inexact 0
		.amdhsa_exception_int_div_zero 0
	.end_amdhsa_kernel
	.section	.text._ZN5aiter22opus_moe_sorting_entryINS_16MoeSortingKernelINS_19MoeSortingProblemExIifLi2ELb0ELb1ELb1ELb1ELi0EEEEENS4_5KargsEEEvT0_,"axG",@progbits,_ZN5aiter22opus_moe_sorting_entryINS_16MoeSortingKernelINS_19MoeSortingProblemExIifLi2ELb0ELb1ELb1ELb1ELi0EEEEENS4_5KargsEEEvT0_,comdat
.Lfunc_end11:
	.size	_ZN5aiter22opus_moe_sorting_entryINS_16MoeSortingKernelINS_19MoeSortingProblemExIifLi2ELb0ELb1ELb1ELb1ELi0EEEEENS4_5KargsEEEvT0_, .Lfunc_end11-_ZN5aiter22opus_moe_sorting_entryINS_16MoeSortingKernelINS_19MoeSortingProblemExIifLi2ELb0ELb1ELb1ELb1ELi0EEEEENS4_5KargsEEEvT0_
                                        ; -- End function
	.section	.AMDGPU.csdata,"",@progbits
; Kernel info:
; codeLenInByte = 4872
; NumSgprs: 74
; NumVgprs: 31
; NumAgprs: 0
; TotalNumVgprs: 31
; ScratchSize: 0
; MemoryBound: 0
; FloatMode: 240
; IeeeMode: 1
; LDSByteSize: 0 bytes/workgroup (compile time only)
; SGPRBlocks: 9
; VGPRBlocks: 3
; NumSGPRsForWavesPerEU: 74
; NumVGPRsForWavesPerEU: 31
; AccumOffset: 32
; Occupancy: 8
; WaveLimiterHint : 1
; COMPUTE_PGM_RSRC2:SCRATCH_EN: 0
; COMPUTE_PGM_RSRC2:USER_SGPR: 6
; COMPUTE_PGM_RSRC2:TRAP_HANDLER: 0
; COMPUTE_PGM_RSRC2:TGID_X_EN: 1
; COMPUTE_PGM_RSRC2:TGID_Y_EN: 0
; COMPUTE_PGM_RSRC2:TGID_Z_EN: 0
; COMPUTE_PGM_RSRC2:TIDIG_COMP_CNT: 0
; COMPUTE_PGM_RSRC3_GFX90A:ACCUM_OFFSET: 7
; COMPUTE_PGM_RSRC3_GFX90A:TG_SPLIT: 0
	.section	.text._ZN5aiter22opus_moe_sorting_entryINS_16MoeSortingKernelINS_19MoeSortingProblemExIifLi1ELb0ELb1ELb1ELb1ELi0EEEEENS4_5KargsEEEvT0_,"axG",@progbits,_ZN5aiter22opus_moe_sorting_entryINS_16MoeSortingKernelINS_19MoeSortingProblemExIifLi1ELb0ELb1ELb1ELb1ELi0EEEEENS4_5KargsEEEvT0_,comdat
	.protected	_ZN5aiter22opus_moe_sorting_entryINS_16MoeSortingKernelINS_19MoeSortingProblemExIifLi1ELb0ELb1ELb1ELb1ELi0EEEEENS4_5KargsEEEvT0_ ; -- Begin function _ZN5aiter22opus_moe_sorting_entryINS_16MoeSortingKernelINS_19MoeSortingProblemExIifLi1ELb0ELb1ELb1ELb1ELi0EEEEENS4_5KargsEEEvT0_
	.globl	_ZN5aiter22opus_moe_sorting_entryINS_16MoeSortingKernelINS_19MoeSortingProblemExIifLi1ELb0ELb1ELb1ELb1ELi0EEEEENS4_5KargsEEEvT0_
	.p2align	8
	.type	_ZN5aiter22opus_moe_sorting_entryINS_16MoeSortingKernelINS_19MoeSortingProblemExIifLi1ELb0ELb1ELb1ELb1ELi0EEEEENS4_5KargsEEEvT0_,@function
_ZN5aiter22opus_moe_sorting_entryINS_16MoeSortingKernelINS_19MoeSortingProblemExIifLi1ELb0ELb1ELb1ELb1ELi0EEEEENS4_5KargsEEEvT0_: ; @_ZN5aiter22opus_moe_sorting_entryINS_16MoeSortingKernelINS_19MoeSortingProblemExIifLi1ELb0ELb1ELb1ELb1ELi0EEEEENS4_5KargsEEEvT0_
; %bb.0:
	s_load_dwordx16 s[36:51], s[4:5], 0x0
	s_load_dwordx4 s[12:15], s[4:5], 0x40
	s_load_dwordx4 s[24:27], s[4:5], 0x54
	s_cmp_eq_u32 s6, 0
	s_waitcnt lgkmcnt(0)
	s_load_dword s33, s[42:43], 0x0
	s_cbranch_scc1 .LBB12_7
; %bb.1:
	s_cmp_eq_u64 s[12:13], 0
	s_mov_b64 s[2:3], 0
	s_cbranch_scc1 .LBB12_6
; %bb.2:
	s_waitcnt lgkmcnt(0)
	s_ashr_i32 s0, s33, 31
	s_mul_i32 s7, s26, s25
	s_mul_hi_i32 s1, s26, s25
	s_mul_i32 s0, s7, s0
	s_mul_hi_u32 s8, s7, s33
	s_add_i32 s0, s8, s0
	s_mul_i32 s1, s1, s33
	s_add_i32 s1, s0, s1
	s_mul_i32 s0, s7, s33
	s_ashr_i32 s7, s1, 31
	s_lshr_b32 s8, s7, 28
	s_add_u32 s0, s0, s8
	s_addc_u32 s1, s1, 0
	v_lshl_add_u32 v1, s6, 8, v0
	s_ashr_i64 s[8:9], s[0:1], 4
	v_add_u32_e32 v2, 0xffffff00, v1
	v_mov_b32_e32 v3, 0
	s_mov_b32 s7, 0
	v_cmp_gt_i64_e32 vcc, s[8:9], v[2:3]
	s_and_saveexec_b64 s[10:11], vcc
	s_cbranch_execz .LBB12_5
; %bb.3:
	s_load_dword s0, s[4:5], 0x90
	v_lshlrev_b64 v[4:5], 4, v[2:3]
	v_mov_b32_e32 v1, s13
	v_add_co_u32_e32 v8, vcc, s12, v4
	s_waitcnt lgkmcnt(0)
	s_lshl_b32 s0, s0, 8
	s_add_i32 s6, s0, 0xffffff00
	s_lshl_b64 s[12:13], s[6:7], 4
	v_pk_mov_b32 v[6:7], v[2:3], v[2:3] op_sel:[0,1]
	v_addc_co_u32_e32 v9, vcc, v1, v5, vcc
	s_mov_b64 s[16:17], 0
	v_mov_b32_e32 v2, v3
	v_mov_b32_e32 v4, v3
	;; [unrolled: 1-line block ×5, first 2 shown]
.LBB12_4:                               ; =>This Inner Loop Header: Depth=1
	v_add_co_u32_e32 v6, vcc, s6, v6
	v_addc_co_u32_e32 v7, vcc, v7, v1, vcc
	global_store_dwordx4 v[8:9], v[2:5], off
	v_add_co_u32_e32 v8, vcc, s12, v8
	v_cmp_le_i64_e64 s[0:1], s[8:9], v[6:7]
	s_or_b64 s[16:17], s[0:1], s[16:17]
	v_addc_co_u32_e32 v9, vcc, v9, v10, vcc
	s_andn2_b64 exec, exec, s[16:17]
	s_cbranch_execnz .LBB12_4
.LBB12_5:
	s_or_b64 exec, exec, s[10:11]
.LBB12_6:
	s_andn2_b64 vcc, exec, s[2:3]
	s_cbranch_vccz .LBB12_8
	s_branch .LBB12_111
.LBB12_7:
.LBB12_8:
	s_load_dwordx8 s[16:23], s[4:5], 0x64
	s_load_dwordx2 s[26:27], s[4:5], 0x84
	v_lshrrev_b32_e32 v1, 6, v0
	s_add_i32 s25, s24, 1
	v_readfirstlane_b32 s30, v1
	s_waitcnt lgkmcnt(0)
	s_add_i32 s52, s16, -2
	s_mul_i32 s53, s52, s24
	v_cmp_gt_i32_e64 s[0:1], s53, v0
	v_xad_u32 v8, v0, -1, s53
	s_and_saveexec_b64 s[2:3], s[0:1]
	s_cbranch_execz .LBB12_18
; %bb.9:
	s_movk_i32 s6, 0xff
	s_mov_b32 s5, 0
	s_mov_b32 s4, s26
	s_sub_i32 s10, s25, s23
	v_cmp_lt_u32_e32 vcc, s6, v8
	s_mov_b64 s[8:9], 0
                                        ; implicit-def: $vgpr1
                                        ; implicit-def: $sgpr11
	s_and_saveexec_b64 s[6:7], vcc
	s_xor_b64 s[6:7], exec, s[6:7]
	s_cbranch_execnz .LBB12_12
; %bb.10:
	s_or_saveexec_b64 s[6:7], s[6:7]
	v_mov_b32_e32 v2, s11
	s_xor_b64 exec, exec, s[6:7]
	s_cbranch_execnz .LBB12_15
.LBB12_11:
	s_or_b64 exec, exec, s[6:7]
	s_and_b64 exec, exec, s[8:9]
	s_cbranch_execnz .LBB12_16
	s_branch .LBB12_18
.LBB12_12:
	v_lshrrev_b32_e32 v1, 8, v8
	v_add_u32_e32 v4, 1, v1
	s_lshl_b32 s11, s24, 3
	v_and_b32_e32 v5, 0x1fffffe, v4
	v_add_u32_e32 v1, 0x100, v0
	s_add_i32 s8, s11, 0
	s_mov_b32 s12, s4
	s_mov_b32 s13, s27
	;; [unrolled: 1-line block ×4, first 2 shown]
	v_lshl_add_u32 v6, v0, 2, s8
	s_mov_b64 s[8:9], 0
	v_mov_b32_e32 v7, 0
	v_mov_b32_e32 v9, v5
	v_pk_mov_b32 v[2:3], v[0:1], v[0:1] op_sel:[0,1]
.LBB12_13:                              ; =>This Inner Loop Header: Depth=1
	v_mul_hi_u32 v1, s4, v2
	v_mul_hi_u32 v10, s12, v3
	v_add_u32_e32 v10, v3, v10
	v_add_u32_e32 v1, v2, v1
	v_add_u32_e32 v9, -2, v9
	v_lshrrev_b32_e32 v1, s13, v1
	v_lshrrev_b32_e32 v10, s28, v10
	v_cmp_eq_u32_e32 vcc, 0, v9
	v_mul_lo_u32 v10, v10, s29
	v_mul_lo_u32 v1, v1, s10
	v_add_u32_e32 v3, 0x200, v3
	v_add_u32_e32 v2, 0x200, v2
	s_or_b64 s[8:9], vcc, s[8:9]
	v_lshl_add_u32 v1, v1, 2, v6
	v_lshl_add_u32 v10, v10, 2, v6
	v_add_u32_e32 v6, 0x800, v6
	ds_write_b32 v1, v7 offset:8
	ds_write_b32 v10, v7 offset:1032
	s_andn2_b64 exec, exec, s[8:9]
	s_cbranch_execnz .LBB12_13
; %bb.14:
	s_or_b64 exec, exec, s[8:9]
	v_cmp_ne_u32_e32 vcc, v4, v5
	v_lshl_add_u32 v1, v5, 8, v0
	s_and_b64 s[8:9], vcc, exec
	s_or_saveexec_b64 s[6:7], s[6:7]
	v_mov_b32_e32 v2, s11
	s_xor_b64 exec, exec, s[6:7]
	s_cbranch_execz .LBB12_11
.LBB12_15:
	s_lshl_b32 s11, s24, 3
	v_mov_b32_e32 v2, s11
	s_or_b64 s[8:9], s[8:9], exec
	v_mov_b32_e32 v1, v0
	s_or_b64 exec, exec, s[6:7]
	s_and_b64 exec, exec, s[8:9]
	s_cbranch_execz .LBB12_18
.LBB12_16:
	v_lshl_add_u32 v2, v1, 2, v2
	v_mad_u64_u32 v[4:5], s[6:7], v1, s4, 0
	s_lshl_b64 s[4:5], s[4:5], 8
	s_lshl_b32 s8, s10, 2
	v_add3_u32 v2, v2, 0, 8
	s_mov_b64 s[6:7], 0
	v_mov_b32_e32 v3, 0
	v_mov_b32_e32 v6, s5
.LBB12_17:                              ; =>This Inner Loop Header: Depth=1
	v_add_co_u32_e32 v4, vcc, s4, v4
	v_add_u32_e32 v7, v1, v5
	v_add_u32_e32 v1, 0x100, v1
	v_addc_co_u32_e32 v5, vcc, v5, v6, vcc
	v_lshrrev_b32_e32 v7, s27, v7
	v_cmp_le_i32_e32 vcc, s53, v1
	v_mad_u64_u32 v[10:11], s[10:11], s8, v7, v[2:3]
	v_add_u32_e32 v2, 0x400, v2
	s_or_b64 s[6:7], vcc, s[6:7]
	ds_write_b32 v10, v3
	s_andn2_b64 exec, exec, s[6:7]
	s_cbranch_execnz .LBB12_17
.LBB12_18:
	s_or_b64 exec, exec, s[2:3]
	s_lshl_b32 s2, s25, 3
	s_add_i32 s54, s2, 0
	s_cmp_gt_i32 s33, 0
	s_mul_i32 s55, s20, s52
	s_mov_b32 s5, 0
	s_cselect_b64 s[12:13], -1, 0
	s_cmp_lt_i32 s33, 1
	v_cmp_gt_i32_e32 vcc, s55, v0
	s_waitcnt lgkmcnt(0)
	s_barrier
	s_cbranch_scc1 .LBB12_26
; %bb.19:
	s_mov_b32 s4, s21
	v_mad_u64_u32 v[2:3], s[2:3], v0, s21, 0
	s_lshl_b64 s[6:7], s[4:5], 8
	v_mov_b32_e32 v5, 0
	s_mov_b32 s4, 0
	s_branch .LBB12_21
.LBB12_20:                              ;   in Loop: Header=BB12_21 Depth=1
	s_or_b64 exec, exec, s[8:9]
	s_add_i32 s4, s4, s52
	s_add_i32 s5, s5, s55
	s_cmp_ge_i32 s4, s33
	s_barrier
	s_cbranch_scc1 .LBB12_26
.LBB12_21:                              ; =>This Loop Header: Depth=1
                                        ;     Child Loop BB12_24 Depth 2
	s_and_saveexec_b64 s[8:9], vcc
	s_cbranch_execz .LBB12_20
; %bb.22:                               ;   in Loop: Header=BB12_21 Depth=1
	s_mov_b64 s[10:11], 0
	v_pk_mov_b32 v[6:7], v[2:3], v[2:3] op_sel:[0,1]
	v_mov_b32_e32 v1, v0
	s_branch .LBB12_24
.LBB12_23:                              ;   in Loop: Header=BB12_24 Depth=2
	s_or_b64 exec, exec, s[28:29]
	v_add_u32_e32 v1, 0x100, v1
	v_cmp_le_i32_e64 s[2:3], s55, v1
	v_mov_b32_e32 v4, s7
	s_or_b64 s[10:11], s[2:3], s[10:11]
	v_add_co_u32_e64 v6, s[2:3], s6, v6
	v_addc_co_u32_e64 v7, s[2:3], v7, v4, s[2:3]
	s_waitcnt lgkmcnt(0)
	s_andn2_b64 exec, exec, s[10:11]
	s_cbranch_execz .LBB12_20
.LBB12_24:                              ;   Parent Loop BB12_21 Depth=1
                                        ; =>  This Inner Loop Header: Depth=2
	v_add_u32_e32 v4, v1, v7
	v_lshrrev_b32_e32 v9, s22, v4
	v_add_u32_e32 v4, s4, v9
	v_cmp_gt_i32_e64 s[2:3], s33, v4
	s_and_saveexec_b64 s[28:29], s[2:3]
	s_cbranch_execz .LBB12_23
; %bb.25:                               ;   in Loop: Header=BB12_24 Depth=2
	v_add_u32_e32 v4, s5, v1
	v_lshlrev_b64 v[10:11], 2, v[4:5]
	v_mov_b32_e32 v4, s37
	v_add_co_u32_e64 v10, s[2:3], s36, v10
	v_addc_co_u32_e64 v11, s[2:3], v4, v11, s[2:3]
	global_load_dword v4, v[10:11], off
	v_mul_lo_u32 v9, v9, s25
	v_lshlrev_b32_e32 v9, 2, v9
	s_waitcnt vmcnt(0)
	v_lshlrev_b32_e32 v4, 2, v4
	v_add3_u32 v4, s54, v4, v9
	ds_read_b32 v9, v4
	s_waitcnt lgkmcnt(0)
	v_add_u32_e32 v9, 1, v9
	ds_write_b32 v4, v9
	s_branch .LBB12_23
.LBB12_26:
	v_cmp_eq_u32_e32 vcc, 0, v0
	s_and_saveexec_b64 s[2:3], vcc
	s_cbranch_execz .LBB12_28
; %bb.27:
	v_mov_b32_e32 v1, 0
	ds_write_b32 v1, v1
.LBB12_28:
	s_or_b64 exec, exec, s[2:3]
	v_mbcnt_lo_u32_b32 v1, -1, 0
	v_and_b32_e32 v15, 7, v0
	v_mbcnt_hi_u32_b32 v9, -1, v1
	v_lshrrev_b32_e32 v14, 3, v0
	v_mul_lo_u32 v1, s25, v15
	v_cmp_gt_i32_e64 s[2:3], s24, v14
	v_lshlrev_b32_e32 v10, 2, v1
	v_lshlrev_b32_e32 v11, 2, v14
	s_and_saveexec_b64 s[8:9], s[2:3]
	s_cbranch_execz .LBB12_36
; %bb.29:
	s_cmp_gt_i32 s16, 2
	s_cselect_b64 s[6:7], -1, 0
	s_lshl_b32 s10, s24, 3
	v_lshlrev_b32_e32 v3, 2, v9
	v_add3_u32 v4, v10, s10, v11
	s_lshl_b32 s16, s24, 5
	v_cndmask_b32_e64 v5, 0, 1, s[6:7]
	v_xor_b32_e32 v1, 4, v3
	v_xor_b32_e32 v2, 8, v3
	v_xor_b32_e32 v3, 16, v3
	v_cmp_eq_u32_e64 s[4:5], 0, v15
	v_add3_u32 v4, v4, 0, 8
	s_add_i32 s16, s16, 32
	s_mov_b64 s[10:11], 0
	v_cmp_ne_u32_e64 s[6:7], 1, v5
	v_mov_b32_e32 v5, v14
	s_branch .LBB12_31
.LBB12_30:                              ;   in Loop: Header=BB12_31 Depth=1
	s_or_b64 exec, exec, s[28:29]
	v_add_u32_e32 v5, 32, v5
	v_cmp_le_i32_e32 vcc, s24, v5
	s_or_b64 s[10:11], vcc, s[10:11]
	v_add_u32_e32 v4, 0x80, v4
	s_andn2_b64 exec, exec, s[10:11]
	s_cbranch_execz .LBB12_36
.LBB12_31:                              ; =>This Loop Header: Depth=1
                                        ;     Child Loop BB12_33 Depth 2
	s_and_b64 vcc, exec, s[6:7]
	v_mov_b32_e32 v6, 0
	s_cbranch_vccnz .LBB12_34
; %bb.32:                               ;   in Loop: Header=BB12_31 Depth=1
	s_mov_b32 s28, 0
	v_mov_b32_e32 v6, 0
	v_mov_b32_e32 v7, v4
.LBB12_33:                              ;   Parent Loop BB12_31 Depth=1
                                        ; =>  This Inner Loop Header: Depth=2
	ds_read_b32 v12, v7
	s_add_i32 s28, s28, 8
	v_add_u32_e32 v7, s16, v7
	s_cmp_ge_i32 s28, s52
	s_waitcnt lgkmcnt(0)
	ds_bpermute_b32 v13, v1, v12
	s_waitcnt lgkmcnt(0)
	v_add_u32_e32 v12, v13, v12
	ds_bpermute_b32 v13, v2, v12
	s_waitcnt lgkmcnt(0)
	v_add_u32_e32 v12, v13, v12
	ds_bpermute_b32 v13, v3, v12
	s_waitcnt lgkmcnt(0)
	v_add3_u32 v6, v12, v6, v13
	s_cbranch_scc0 .LBB12_33
.LBB12_34:                              ;   in Loop: Header=BB12_31 Depth=1
	s_and_saveexec_b64 s[28:29], s[4:5]
	s_cbranch_execz .LBB12_30
; %bb.35:                               ;   in Loop: Header=BB12_31 Depth=1
	v_lshl_add_u32 v7, v5, 2, 0
	ds_write_b32 v7, v6 offset:4
	s_branch .LBB12_30
.LBB12_36:
	s_or_b64 exec, exec, s[8:9]
	s_lshl_b32 s16, s24, 2
	s_add_i32 s31, s16, 0
	v_mov_b32_e32 v1, 0
	v_mov_b32_e32 v2, s31
	v_cmp_gt_i32_e64 s[4:5], s24, v0
	ds_write_b32 v2, v1 offset:4
	s_and_saveexec_b64 s[6:7], s[4:5]
	s_cbranch_execz .LBB12_46
; %bb.37:
	v_xad_u32 v1, v0, -1, s24
	s_movk_i32 s8, 0xff
	v_cmp_lt_u32_e32 vcc, s8, v1
	s_mov_b64 s[10:11], 0
                                        ; implicit-def: $vgpr2
	s_and_saveexec_b64 s[8:9], vcc
	s_xor_b64 s[8:9], exec, s[8:9]
	s_cbranch_execnz .LBB12_40
; %bb.38:
	s_or_saveexec_b64 s[8:9], s[8:9]
	v_mov_b32_e32 v1, s16
	s_xor_b64 exec, exec, s[8:9]
	s_cbranch_execnz .LBB12_43
.LBB12_39:
	s_or_b64 exec, exec, s[8:9]
	s_and_b64 exec, exec, s[10:11]
	s_cbranch_execnz .LBB12_44
	s_branch .LBB12_46
.LBB12_40:
	v_lshrrev_b32_e32 v1, 8, v1
	v_add_u32_e32 v6, 1, v1
	v_and_b32_e32 v7, 0x1fffffe, v6
	v_add_u32_e32 v1, 0x100, v0
	v_lshlrev_b32_e32 v2, 2, v0
	v_add3_u32 v12, s31, v2, 8
	v_mov_b32_e32 v13, s41
	v_mov_b32_e32 v3, 0
	;; [unrolled: 1-line block ×3, first 2 shown]
	v_pk_mov_b32 v[4:5], v[0:1], v[0:1] op_sel:[0,1]
.LBB12_41:                              ; =>This Inner Loop Header: Depth=1
	v_mov_b32_e32 v2, v4
	v_lshlrev_b64 v[18:19], 2, v[2:3]
	v_mov_b32_e32 v2, v5
	v_add_co_u32_e32 v18, vcc, s40, v18
	v_addc_co_u32_e32 v19, vcc, v13, v19, vcc
	v_lshlrev_b64 v[20:21], 2, v[2:3]
	v_add_co_u32_e32 v20, vcc, s40, v20
	v_addc_co_u32_e32 v21, vcc, v13, v21, vcc
	global_load_dword v1, v[18:19], off
	global_load_dword v2, v[20:21], off
	v_add_u32_e32 v16, -2, v16
	v_cmp_eq_u32_e32 vcc, 0, v16
	v_add_u32_e32 v4, 0x200, v4
	v_add_u32_e32 v5, 0x200, v5
	s_or_b64 s[10:11], vcc, s[10:11]
	s_waitcnt vmcnt(0)
	ds_write2st64_b32 v12, v1, v2 offset1:4
	v_add_u32_e32 v12, 0x800, v12
	s_andn2_b64 exec, exec, s[10:11]
	s_cbranch_execnz .LBB12_41
; %bb.42:
	s_or_b64 exec, exec, s[10:11]
	v_cmp_ne_u32_e32 vcc, v6, v7
	v_lshl_add_u32 v2, v7, 8, v0
	s_and_b64 s[10:11], vcc, exec
	s_or_saveexec_b64 s[8:9], s[8:9]
	v_mov_b32_e32 v1, s16
	s_xor_b64 exec, exec, s[8:9]
	s_cbranch_execz .LBB12_39
.LBB12_43:
	v_mov_b32_e32 v1, s16
	s_or_b64 s[10:11], s[10:11], exec
	v_mov_b32_e32 v2, v0
	s_or_b64 exec, exec, s[8:9]
	s_and_b64 exec, exec, s[10:11]
	s_cbranch_execz .LBB12_46
.LBB12_44:
	v_mov_b32_e32 v3, 0
	v_lshlrev_b64 v[4:5], 2, v[2:3]
	v_lshl_add_u32 v1, v2, 2, v1
	v_mov_b32_e32 v3, s41
	v_add_co_u32_e32 v4, vcc, s40, v4
	v_add3_u32 v1, v1, 0, 8
	v_addc_co_u32_e32 v5, vcc, v3, v5, vcc
	s_mov_b64 s[8:9], 0
.LBB12_45:                              ; =>This Inner Loop Header: Depth=1
	global_load_dword v3, v[4:5], off
	v_add_co_u32_e32 v4, vcc, 0x400, v4
	v_add_u32_e32 v2, 0x100, v2
	v_addc_co_u32_e32 v5, vcc, 0, v5, vcc
	v_cmp_le_i32_e32 vcc, s24, v2
	s_or_b64 s[8:9], vcc, s[8:9]
	s_waitcnt vmcnt(0)
	ds_write_b32 v1, v3
	v_add_u32_e32 v1, 0x400, v1
	s_andn2_b64 exec, exec, s[8:9]
	s_cbranch_execnz .LBB12_45
.LBB12_46:
	s_or_b64 exec, exec, s[6:7]
	s_add_i32 s56, s31, 4
	s_cmp_lg_u32 s30, 0
	s_waitcnt lgkmcnt(0)
	s_barrier
	s_cbranch_scc1 .LBB12_57
; %bb.47:
	s_mov_b32 s30, 0
	s_cmp_lt_i32 s24, 1
	v_mov_b32_e32 v2, 0
	s_cbranch_scc1 .LBB12_54
; %bb.48:
	v_lshlrev_b32_e32 v2, 2, v9
	v_and_b32_e32 v3, 0xc0, v2
	v_cmp_eq_u32_e32 vcc, 0, v9
	s_add_i32 s34, s17, -1
	v_add_u32_e32 v1, -4, v3
	v_cmp_lt_u32_e64 s[6:7], 15, v9
	v_add_u32_e32 v3, 0xffffffbc, v3
	v_cmp_lt_u32_e64 s[8:9], 31, v9
	v_add_u32_e32 v4, 0, v2
	s_branch .LBB12_50
.LBB12_49:                              ;   in Loop: Header=BB12_50 Depth=1
	s_or_b64 exec, exec, s[28:29]
	s_add_i32 s30, s30, 64
	s_cmp_lt_i32 s30, s24
	v_add_u32_e32 v4, 0x100, v4
	s_waitcnt lgkmcnt(0)
	s_cbranch_scc0 .LBB12_54
.LBB12_50:                              ; =>This Inner Loop Header: Depth=1
	ds_read_b32 v7, v4 offset:4
	v_mov_b32_e32 v2, s30
	v_add_u32_e32 v5, s16, v4
	ds_read_b32 v6, v5 offset:8
	v_cndmask_b32_e32 v2, 0, v2, vcc
	s_waitcnt lgkmcnt(1)
	v_add_u32_e32 v7, s34, v7
	v_lshlrev_b32_e32 v2, 2, v2
	v_mul_hi_u32 v13, v7, s18
	v_add_u32_e32 v12, 0, v2
	v_add_u32_e32 v7, v7, v13
	v_lshrrev_b32_e32 v13, s19, v7
	v_add_u32_e32 v2, s56, v2
	ds_read_b32 v12, v12
	ds_read_b32 v7, v2
	v_mul_lo_u32 v2, v13, s17
	s_waitcnt lgkmcnt(2)
	v_cmp_ne_u32_e64 s[10:11], 0, v6
	v_cndmask_b32_e64 v2, 0, v2, s[10:11]
	s_waitcnt lgkmcnt(1)
	v_add_u32_e32 v2, v2, v12
	v_add_u32_e32 v13, s30, v9
	v_cmp_gt_i32_e64 s[10:11], s24, v13
	v_add_u32_dpp v2, v2, v2 row_shr:1 row_mask:0xf bank_mask:0xf bound_ctrl:1
	s_nop 1
	v_add_u32_dpp v2, v2, v2 row_shr:2 row_mask:0xf bank_mask:0xf bound_ctrl:1
	s_nop 1
	;; [unrolled: 2-line block ×3, first 2 shown]
	v_add_u32_dpp v2, v2, v2 row_shr:8 row_mask:0xf bank_mask:0xf bound_ctrl:1
	ds_bpermute_b32 v12, v1, v2
	s_waitcnt lgkmcnt(0)
	v_cndmask_b32_e64 v12, 0, v12, s[6:7]
	v_add_u32_e32 v2, v2, v12
	ds_bpermute_b32 v12, v3, v2
	s_waitcnt lgkmcnt(0)
	v_cndmask_b32_e64 v12, 0, v12, s[8:9]
	v_add_u32_e32 v2, v2, v12
	s_and_saveexec_b64 s[28:29], s[10:11]
	s_cbranch_execz .LBB12_52
; %bb.51:                               ;   in Loop: Header=BB12_50 Depth=1
	ds_write_b32 v4, v2 offset:4
.LBB12_52:                              ;   in Loop: Header=BB12_50 Depth=1
	s_or_b64 exec, exec, s[28:29]
	v_add_u32_e32 v6, v6, v7
	s_nop 1
	v_add_u32_dpp v6, v6, v6 row_shr:1 row_mask:0xf bank_mask:0xf bound_ctrl:1
	s_nop 1
	v_add_u32_dpp v6, v6, v6 row_shr:2 row_mask:0xf bank_mask:0xf bound_ctrl:1
	;; [unrolled: 2-line block ×4, first 2 shown]
	ds_bpermute_b32 v7, v1, v6
	s_waitcnt lgkmcnt(0)
	v_cndmask_b32_e64 v7, 0, v7, s[6:7]
	v_add_u32_e32 v6, v7, v6
	ds_bpermute_b32 v7, v3, v6
	s_and_saveexec_b64 s[28:29], s[10:11]
	s_cbranch_execz .LBB12_49
; %bb.53:                               ;   in Loop: Header=BB12_50 Depth=1
	s_waitcnt lgkmcnt(0)
	v_cndmask_b32_e64 v7, 0, v7, s[8:9]
	v_add_u32_e32 v6, v7, v6
	ds_write_b32 v5, v6 offset:8
	s_branch .LBB12_49
.LBB12_54:
	v_add_u32_e32 v1, s30, v9
	v_subrev_u32_e32 v1, 63, v1
	v_cmp_eq_u32_e32 vcc, s24, v1
	s_and_saveexec_b64 s[6:7], vcc
	s_cbranch_execz .LBB12_56
; %bb.55:
	v_mov_b32_e32 v1, 0
	v_mov_b32_e32 v3, s33
	global_store_dwordx2 v1, v[2:3], s[50:51]
.LBB12_56:
	s_or_b64 exec, exec, s[6:7]
.LBB12_57:
	s_cmp_eq_u64 s[14:15], 0
	s_barrier
	s_cbranch_scc1 .LBB12_64
; %bb.58:
	s_mul_i32 s28, s33, s20
	v_cmp_gt_i32_e32 vcc, s28, v0
	s_and_saveexec_b64 s[8:9], vcc
	s_cbranch_execz .LBB12_63
; %bb.59:
	v_lshlrev_b32_e32 v1, 2, v0
	v_mov_b32_e32 v3, s37
	v_add_co_u32_e32 v2, vcc, s36, v1
	v_addc_co_u32_e32 v3, vcc, 0, v3, vcc
	v_mov_b32_e32 v5, s15
	v_add_co_u32_e32 v4, vcc, s14, v1
	v_addc_co_u32_e32 v5, vcc, 0, v5, vcc
	s_mov_b64 s[10:11], 0
	v_mov_b32_e32 v1, s41
	v_mov_b32_e32 v12, v0
	s_branch .LBB12_61
.LBB12_60:                              ;   in Loop: Header=BB12_61 Depth=1
	s_or_b64 exec, exec, s[6:7]
	v_add_co_u32_e32 v2, vcc, 0x400, v2
	v_add_u32_e32 v12, 0x100, v12
	v_addc_co_u32_e32 v3, vcc, 0, v3, vcc
	s_waitcnt lgkmcnt(0)
	global_store_dword v[4:5], v7, off
	v_add_co_u32_e32 v4, vcc, 0x400, v4
	v_cmp_le_i32_e64 s[6:7], s28, v12
	s_or_b64 s[10:11], s[6:7], s[10:11]
	v_addc_co_u32_e32 v5, vcc, 0, v5, vcc
	s_andn2_b64 exec, exec, s[10:11]
	s_cbranch_execz .LBB12_63
.LBB12_61:                              ; =>This Inner Loop Header: Depth=1
	global_load_dword v6, v[2:3], off
	s_waitcnt vmcnt(0)
	v_ashrrev_i32_e32 v7, 31, v6
	v_lshlrev_b64 v[16:17], 2, v[6:7]
	v_add_co_u32_e32 v16, vcc, s40, v16
	v_addc_co_u32_e32 v17, vcc, v1, v17, vcc
	global_load_dword v7, v[16:17], off
	s_waitcnt vmcnt(0)
	v_cmp_ne_u32_e32 vcc, 0, v7
	v_mov_b32_e32 v7, -1
	s_and_saveexec_b64 s[6:7], vcc
	s_cbranch_execz .LBB12_60
; %bb.62:                               ;   in Loop: Header=BB12_61 Depth=1
	v_lshl_add_u32 v6, v6, 2, s56
	ds_read_b32 v7, v6
	s_branch .LBB12_60
.LBB12_63:
	s_or_b64 exec, exec, s[8:9]
	s_barrier
.LBB12_64:
	s_and_saveexec_b64 s[8:9], s[4:5]
	s_cbranch_execz .LBB12_71
; %bb.65:
	s_mov_b64 s[10:11], 0
	v_mov_b32_e32 v3, 0
	v_mov_b32_e32 v4, v0
	s_branch .LBB12_67
.LBB12_66:                              ;   in Loop: Header=BB12_67 Depth=1
	s_or_b64 exec, exec, s[14:15]
	v_add_u32_e32 v4, 0x100, v4
	v_cmp_le_i32_e32 vcc, s24, v4
	s_or_b64 s[10:11], vcc, s[10:11]
	s_andn2_b64 exec, exec, s[10:11]
	s_cbranch_execz .LBB12_71
.LBB12_67:                              ; =>This Loop Header: Depth=1
                                        ;     Child Loop BB12_70 Depth 2
	s_waitcnt lgkmcnt(1)
	v_lshlrev_b32_e32 v1, 2, v4
	v_add_u32_e32 v2, 0, v1
	ds_read2_b32 v[6:7], v2 offset1:1
	v_add_u32_e32 v2, s56, v1
	ds_read_b32 v1, v2
	s_waitcnt lgkmcnt(1)
	v_cmp_ne_u32_e32 vcc, v6, v7
	ds_write_b32 v2, v6
	s_and_saveexec_b64 s[14:15], vcc
	s_cbranch_execz .LBB12_66
; %bb.68:                               ;   in Loop: Header=BB12_67 Depth=1
	v_mov_b32_e32 v5, v3
	v_lshlrev_b64 v[12:13], 2, v[4:5]
	v_mov_b32_e32 v2, s41
	v_add_co_u32_e32 v12, vcc, s40, v12
	v_addc_co_u32_e32 v13, vcc, v2, v13, vcc
	global_load_dword v2, v[12:13], off
	v_cmp_lt_i32_e64 s[6:7], v6, v7
	s_waitcnt vmcnt(0)
	v_cmp_ne_u32_e32 vcc, 0, v2
	s_and_b64 s[6:7], s[6:7], vcc
	s_and_b64 exec, exec, s[6:7]
	s_cbranch_execz .LBB12_66
; %bb.69:                               ;   in Loop: Header=BB12_67 Depth=1
	s_mov_b64 s[6:7], 0
.LBB12_70:                              ;   Parent Loop BB12_67 Depth=1
                                        ; =>  This Inner Loop Header: Depth=2
	v_mul_hi_u32 v2, s18, v6
	v_add_u32_e32 v2, v6, v2
	v_add_u32_e32 v6, s17, v6
	v_lshrrev_b32_e32 v2, s19, v2
	v_cmp_ge_i32_e32 vcc, v6, v7
	v_lshlrev_b64 v[12:13], 2, v[2:3]
	v_mov_b32_e32 v5, s49
	s_or_b64 s[6:7], vcc, s[6:7]
	v_add_co_u32_e32 v12, vcc, s48, v12
	v_addc_co_u32_e32 v13, vcc, v5, v13, vcc
	s_waitcnt lgkmcnt(1)
	global_store_dword v[12:13], v1, off
	s_andn2_b64 exec, exec, s[6:7]
	s_cbranch_execnz .LBB12_70
	s_branch .LBB12_66
.LBB12_71:
	s_or_b64 exec, exec, s[8:9]
	s_waitcnt lgkmcnt(1)
	v_mov_b32_e32 v1, s31
	s_waitcnt lgkmcnt(0)
	s_barrier
	ds_read_b32 v1, v1
	s_add_i32 s6, s31, s16
	v_mov_b32_e32 v2, s6
	s_andn2_b64 vcc, exec, s[12:13]
	s_waitcnt lgkmcnt(0)
	ds_write_b32 v2, v1 offset:4
	s_cbranch_vccnz .LBB12_100
; %bb.72:
	s_sub_i32 s23, s25, s23
	s_add_u32 s59, s44, -4
	s_addc_u32 s60, s45, -1
	v_and_b32_e32 v1, 8, v9
	s_add_u32 s61, s38, -4
	v_cmp_eq_u32_e64 s[8:9], 0, v1
	v_lshrrev_b32_e32 v1, 8, v8
	s_addc_u32 s62, s39, -1
	v_add_u32_e32 v3, 1, v1
	s_add_u32 s63, s46, -4
	s_mov_b32 s19, 0
	v_and_b32_e32 v18, 0x1fffffe, v3
	s_addc_u32 s64, s47, -1
	s_lshl_b32 s34, s24, 3
	s_mov_b32 s18, s26
	s_mov_b32 s14, s21
	;; [unrolled: 1-line block ×3, first 2 shown]
	v_lshlrev_b32_e32 v16, 2, v0
	s_movk_i32 s10, 0xff
	v_lshl_add_u32 v2, v18, 8, v0
	v_cmp_ne_u32_e64 s[12:13], v3, v18
	s_add_i32 s16, s34, 0
	v_mov_b32_e32 v5, 0
	v_mov_b32_e32 v4, v0
	v_add3_u32 v3, v10, s34, v11
	s_lshl_b32 s67, s24, 5
	v_cmp_gt_i32_e32 vcc, s55, v0
	v_cmp_gt_i32_e64 s[6:7], s52, v15
	v_or_b32_e32 v17, 28, v16
	v_cmp_lt_u32_e64 s[10:11], s10, v8
	v_add_u32_e32 v1, 0x100, v0
	s_mov_b32 s57, s27
	s_mov_b32 s58, s23
	v_add_u32_e32 v19, s16, v16
	s_lshl_b32 s65, s23, 2
	s_lshl_b64 s[28:29], s[18:19], 8
	s_sub_i32 s66, 0, s20
	v_pk_mov_b32 v[6:7], v[4:5], v[4:5] op_sel:[0,1]
	v_mad_u64_u32 v[8:9], s[16:17], v0, s21, 0
	s_lshl_b64 s[30:31], s[14:15], 8
	v_mul_lo_u32 v20, s20, v15
	s_lshl_b32 s21, s20, 3
	v_add3_u32 v21, v3, 0, 8
	s_add_i32 s67, s67, 32
	v_lshlrev_b32_e32 v22, 2, v2
	s_mov_b32 s68, 0x4020100
	s_mov_b32 s69, s19
	s_branch .LBB12_74
.LBB12_73:                              ;   in Loop: Header=BB12_74 Depth=1
	s_or_b64 exec, exec, s[34:35]
	s_add_i32 s69, s69, s52
	s_add_i32 s19, s19, s55
	s_cmp_ge_i32 s69, s33
	v_add_u32_e32 v20, s55, v20
	s_waitcnt lgkmcnt(0)
	s_barrier
	s_cbranch_scc1 .LBB12_100
.LBB12_74:                              ; =>This Loop Header: Depth=1
                                        ;     Child Loop BB12_77 Depth 2
                                        ;     Child Loop BB12_83 Depth 2
	;; [unrolled: 1-line block ×4, first 2 shown]
                                        ;       Child Loop BB12_98 Depth 3
	s_and_saveexec_b64 s[16:17], s[0:1]
	s_cbranch_execz .LBB12_84
; %bb.75:                               ;   in Loop: Header=BB12_74 Depth=1
	s_mov_b64 s[14:15], -1
	v_mov_b32_e32 v23, v0
	v_mov_b32_e32 v3, v16
	v_pk_mov_b32 v[12:13], v[6:7], v[6:7] op_sel:[0,1]
	s_and_saveexec_b64 s[34:35], s[10:11]
	s_cbranch_execz .LBB12_81
; %bb.76:                               ;   in Loop: Header=BB12_74 Depth=1
	s_mov_b64 s[38:39], 0
	v_mov_b32_e32 v3, v18
	v_mov_b32_e32 v4, v19
	v_pk_mov_b32 v[10:11], v[0:1], v[0:1] op_sel:[0,1]
.LBB12_77:                              ;   Parent Loop BB12_74 Depth=1
                                        ; =>  This Inner Loop Header: Depth=2
	v_mul_hi_u32 v12, s18, v10
	v_mul_hi_u32 v13, s26, v11
	v_add_u32_e32 v13, v11, v13
	v_add_u32_e32 v12, v10, v12
	v_add_u32_e32 v3, -2, v3
	v_lshrrev_b32_e32 v12, s57, v12
	v_lshrrev_b32_e32 v13, s27, v13
	v_cmp_eq_u32_e64 s[14:15], 0, v3
	v_mul_lo_u32 v13, v13, s58
	v_mul_lo_u32 v12, v12, s23
	v_add_u32_e32 v11, 0x200, v11
	v_add_u32_e32 v10, 0x200, v10
	s_or_b64 s[38:39], s[14:15], s[38:39]
	v_lshl_add_u32 v12, v12, 2, v4
	v_lshl_add_u32 v13, v13, 2, v4
	v_add_u32_e32 v4, 0x800, v4
	ds_write_b32 v12, v5 offset:8
	ds_write_b32 v13, v5 offset:1032
	s_andn2_b64 exec, exec, s[38:39]
	s_cbranch_execnz .LBB12_77
; %bb.78:                               ;   in Loop: Header=BB12_74 Depth=1
	s_or_b64 exec, exec, s[38:39]
	s_mov_b64 s[14:15], 0
                                        ; implicit-def: $vgpr12_vgpr13
	s_and_saveexec_b64 s[38:39], s[12:13]
	s_xor_b64 s[38:39], exec, s[38:39]
; %bb.79:                               ;   in Loop: Header=BB12_74 Depth=1
	v_mov_b32_e32 v3, v5
	s_mov_b64 s[14:15], exec
	v_pk_mov_b32 v[12:13], v[2:3], v[2:3] op_sel:[0,1]
; %bb.80:                               ;   in Loop: Header=BB12_74 Depth=1
	s_or_b64 exec, exec, s[38:39]
	s_orn2_b64 s[14:15], s[14:15], exec
	v_mov_b32_e32 v23, v2
	v_mov_b32_e32 v3, v22
.LBB12_81:                              ;   in Loop: Header=BB12_74 Depth=1
	s_or_b64 exec, exec, s[34:35]
	s_and_b64 exec, exec, s[14:15]
	s_cbranch_execz .LBB12_84
; %bb.82:                               ;   in Loop: Header=BB12_74 Depth=1
	v_mad_u64_u32 v[10:11], s[14:15], s18, v12, 0
	v_mov_b32_e32 v12, v11
	v_mad_u64_u32 v[12:13], s[14:15], s18, v13, v[12:13]
	v_add_u32_e32 v4, s54, v3
	v_mov_b32_e32 v3, v12
	s_mov_b64 s[34:35], 0
.LBB12_83:                              ;   Parent Loop BB12_74 Depth=1
                                        ; =>  This Inner Loop Header: Depth=2
	v_mov_b32_e32 v12, s29
	v_add_co_u32_e64 v10, s[14:15], s28, v10
	v_add_u32_e32 v11, v23, v3
	v_add_u32_e32 v23, 0x100, v23
	v_addc_co_u32_e64 v3, s[14:15], v3, v12, s[14:15]
	v_lshrrev_b32_e32 v11, s27, v11
	v_cmp_le_i32_e64 s[14:15], s53, v23
	v_mad_u64_u32 v[12:13], s[38:39], s65, v11, v[4:5]
	v_add_u32_e32 v4, 0x400, v4
	s_or_b64 s[34:35], s[14:15], s[34:35]
	ds_write_b32 v12, v5
	s_andn2_b64 exec, exec, s[34:35]
	s_cbranch_execnz .LBB12_83
.LBB12_84:                              ;   in Loop: Header=BB12_74 Depth=1
	s_or_b64 exec, exec, s[16:17]
	s_waitcnt lgkmcnt(0)
	s_barrier
	s_and_saveexec_b64 s[16:17], vcc
	s_cbranch_execz .LBB12_89
; %bb.85:                               ;   in Loop: Header=BB12_74 Depth=1
	s_mov_b64 s[34:35], 0
	v_pk_mov_b32 v[10:11], v[8:9], v[8:9] op_sel:[0,1]
	v_mov_b32_e32 v3, v0
	s_branch .LBB12_87
.LBB12_86:                              ;   in Loop: Header=BB12_87 Depth=2
	s_or_b64 exec, exec, s[38:39]
	v_add_u32_e32 v3, 0x100, v3
	v_cmp_le_i32_e64 s[14:15], s55, v3
	v_mov_b32_e32 v4, s31
	s_or_b64 s[34:35], s[14:15], s[34:35]
	v_add_co_u32_e64 v10, s[14:15], s30, v10
	v_addc_co_u32_e64 v11, s[14:15], v11, v4, s[14:15]
	s_andn2_b64 exec, exec, s[34:35]
	s_cbranch_execz .LBB12_89
.LBB12_87:                              ;   Parent Loop BB12_74 Depth=1
                                        ; =>  This Inner Loop Header: Depth=2
	v_add_u32_e32 v4, v3, v11
	v_lshrrev_b32_e32 v4, s22, v4
	v_add_u32_e32 v12, s69, v4
	v_cmp_gt_i32_e64 s[14:15], s33, v12
	s_and_saveexec_b64 s[38:39], s[14:15]
	s_cbranch_execz .LBB12_86
; %bb.88:                               ;   in Loop: Header=BB12_87 Depth=2
	v_add_u32_e32 v12, s19, v3
	v_ashrrev_i32_e32 v13, 31, v12
	v_lshlrev_b64 v[12:13], 2, v[12:13]
	v_mov_b32_e32 v23, s37
	v_add_co_u32_e64 v12, s[14:15], s36, v12
	v_addc_co_u32_e64 v13, s[14:15], v23, v13, s[14:15]
	global_load_dword v12, v[12:13], off
	v_mul_lo_u32 v13, s66, v4
	v_mul_lo_u32 v4, v4, s25
	v_lshlrev_b32_e32 v4, 2, v4
	v_add3_u32 v13, v3, v13, 1
	s_waitcnt vmcnt(0)
	v_lshlrev_b32_e32 v12, 2, v12
	v_add3_u32 v4, s54, v12, v4
	ds_write_b32 v4, v13
	s_branch .LBB12_86
.LBB12_89:                              ;   in Loop: Header=BB12_74 Depth=1
	s_or_b64 exec, exec, s[16:17]
	s_waitcnt lgkmcnt(0)
	s_barrier
	s_and_saveexec_b64 s[34:35], s[2:3]
	s_cbranch_execz .LBB12_73
; %bb.90:                               ;   in Loop: Header=BB12_74 Depth=1
	s_mov_b64 s[38:39], 0
	v_mov_b32_e32 v3, v21
	v_mov_b32_e32 v4, v14
	s_branch .LBB12_94
.LBB12_91:                              ;   in Loop: Header=BB12_94 Depth=2
	s_or_b64 exec, exec, s[50:51]
.LBB12_92:                              ;   in Loop: Header=BB12_94 Depth=2
	s_or_b64 exec, exec, s[48:49]
	s_waitcnt lgkmcnt(0)
	ds_write_b32 v10, v11
.LBB12_93:                              ;   in Loop: Header=BB12_94 Depth=2
	s_or_b64 exec, exec, s[42:43]
	v_add_u32_e32 v4, 32, v4
	v_cmp_le_i32_e64 s[14:15], s24, v4
	s_or_b64 s[38:39], s[14:15], s[38:39]
	v_add_u32_e32 v3, 0x80, v3
	s_andn2_b64 exec, exec, s[38:39]
	s_cbranch_execz .LBB12_73
.LBB12_94:                              ;   Parent Loop BB12_74 Depth=1
                                        ; =>  This Loop Header: Depth=2
                                        ;       Child Loop BB12_98 Depth 3
	v_lshlrev_b64 v[10:11], 2, v[4:5]
	v_mov_b32_e32 v12, s41
	v_add_co_u32_e64 v10, s[14:15], s40, v10
	v_addc_co_u32_e64 v11, s[14:15], v12, v11, s[14:15]
	global_load_dword v10, v[10:11], off
	s_waitcnt vmcnt(0)
	v_cmp_ne_u32_e64 s[14:15], 0, v10
	s_and_saveexec_b64 s[42:43], s[14:15]
	s_cbranch_execz .LBB12_93
; %bb.95:                               ;   in Loop: Header=BB12_94 Depth=2
	v_lshl_add_u32 v10, v4, 2, 0
	ds_read_b32 v11, v10
	s_and_saveexec_b64 s[48:49], s[6:7]
	s_cbranch_execz .LBB12_92
; %bb.96:                               ;   in Loop: Header=BB12_94 Depth=2
	s_mov_b64 s[50:51], 0
	v_mov_b32_e32 v12, v3
	v_mov_b32_e32 v13, v20
	;; [unrolled: 1-line block ×3, first 2 shown]
	s_branch .LBB12_98
.LBB12_97:                              ;   in Loop: Header=BB12_98 Depth=3
	s_or_b64 exec, exec, s[16:17]
	ds_bpermute_b32 v24, v17, v24
	v_add_u32_e32 v23, 8, v23
	v_cmp_le_i32_e64 s[14:15], s52, v23
	v_add_u32_e32 v13, s21, v13
	s_or_b64 s[50:51], s[14:15], s[50:51]
	s_waitcnt lgkmcnt(0)
	v_add_u32_e32 v11, v24, v11
	v_add_u32_e32 v12, s67, v12
	s_andn2_b64 exec, exec, s[50:51]
	s_cbranch_execz .LBB12_91
.LBB12_98:                              ;   Parent Loop BB12_74 Depth=1
                                        ;     Parent Loop BB12_94 Depth=2
                                        ; =>    This Inner Loop Header: Depth=3
	ds_read_b32 v25, v12
	s_waitcnt lgkmcnt(0)
	v_cmp_ne_u32_e64 s[14:15], 0, v25
	v_cndmask_b32_e64 v24, 0, 1, s[14:15]
	s_nop 1
	v_mov_b32_dpp v24, v24 row_shr:1 row_mask:0xf bank_mask:0xf bound_ctrl:1
	v_addc_co_u32_e64 v26, s[16:17], 0, v24, s[14:15]
	s_nop 1
	v_mov_b32_dpp v26, v26 row_shr:2 row_mask:0xf bank_mask:0xf bound_ctrl:1
	v_addc_co_u32_e64 v24, s[16:17], v26, v24, s[14:15]
	s_nop 1
	v_add_u32_dpp v24, v24, v24 row_shr:4 row_mask:0xf bank_mask:0xf bound_ctrl:1
	s_nop 1
	v_add_u32_dpp v24, v24, v24 row_shr:8 row_mask:0xf bank_mask:0xf bound_ctrl:1
	s_nop 1
	v_mov_b32_dpp v26, v24 row_newbcast:7 row_mask:0xf bank_mask:0xf bound_ctrl:1
	v_cndmask_b32_e64 v26, v26, 0, s[8:9]
	v_sub_u32_e32 v24, v24, v26
	s_and_saveexec_b64 s[16:17], s[14:15]
	s_cbranch_execz .LBB12_97
; %bb.99:                               ;   in Loop: Header=BB12_98 Depth=3
	v_add_u32_e32 v26, v13, v25
	v_ashrrev_i32_e32 v27, 31, v26
	v_lshlrev_b64 v[26:27], 2, v[26:27]
	v_mov_b32_e32 v28, s62
	v_add_co_u32_e64 v26, s[14:15], s61, v26
	v_addc_co_u32_e64 v27, s[14:15], v28, v27, s[14:15]
	global_load_dword v30, v[26:27], off
	v_add_u32_e32 v26, s69, v23
	v_perm_b32 v25, v25, v26, s68
	v_add_u32_e32 v26, v24, v11
	v_ashrrev_i32_e32 v27, 31, v26
	v_lshlrev_b64 v[26:27], 2, v[26:27]
	v_mov_b32_e32 v29, s60
	v_add_co_u32_e64 v28, s[14:15], s59, v26
	v_add_u32_e32 v25, 0xff000000, v25
	v_addc_co_u32_e64 v29, s[14:15], v29, v27, s[14:15]
	global_store_dword v[28:29], v25, off
	v_mov_b32_e32 v25, s64
	v_add_co_u32_e64 v26, s[14:15], s63, v26
	v_addc_co_u32_e64 v27, s[14:15], v25, v27, s[14:15]
	s_waitcnt vmcnt(1)
	global_store_dword v[26:27], v30, off
	s_branch .LBB12_97
.LBB12_100:
	s_and_saveexec_b64 s[0:1], s[4:5]
	s_cbranch_execz .LBB12_111
; %bb.101:
	s_and_b32 s0, s33, 0xffffff
	s_lshl_b32 s1, s20, 24
	s_or_b32 s4, s0, s1
	s_mov_b32 s5, s4
	s_add_i32 s56, s56, 4
	s_mov_b64 s[2:3], 0
	s_mov_b32 s8, 0
	v_mov_b32_e32 v1, 0
	s_branch .LBB12_103
.LBB12_102:                             ;   in Loop: Header=BB12_103 Depth=1
	s_or_b64 exec, exec, s[12:13]
	v_add_u32_e32 v0, 0x100, v0
	v_cmp_le_i32_e32 vcc, s24, v0
	s_or_b64 s[2:3], vcc, s[2:3]
	s_andn2_b64 exec, exec, s[2:3]
	s_cbranch_execz .LBB12_111
.LBB12_103:                             ; =>This Loop Header: Depth=1
                                        ;     Child Loop BB12_106 Depth 2
                                        ;     Child Loop BB12_110 Depth 2
	v_lshlrev_b32_e32 v2, 2, v0
	v_add_u32_e32 v3, 0, v2
	v_add_u32_e32 v4, s56, v2
	ds_read_b32 v2, v3
	ds_read_b32 v8, v4
	s_waitcnt lgkmcnt(0)
	v_cmp_gt_i32_e32 vcc, v8, v2
	s_and_saveexec_b64 s[12:13], vcc
	s_cbranch_execz .LBB12_102
; %bb.104:                              ;   in Loop: Header=BB12_103 Depth=1
	v_sub_u32_e32 v3, v8, v2
	v_cmp_lt_u32_e32 vcc, 15, v3
	s_mov_b64 s[6:7], -1
	s_and_saveexec_b64 s[0:1], vcc
	s_cbranch_execz .LBB12_108
; %bb.105:                              ;   in Loop: Header=BB12_103 Depth=1
	v_and_b32_e32 v6, -16, v3
	s_mov_b64 s[14:15], 0
	v_mov_b32_e32 v4, v2
	v_mov_b32_e32 v7, v6
.LBB12_106:                             ;   Parent Loop BB12_103 Depth=1
                                        ; =>  This Inner Loop Header: Depth=2
	v_ashrrev_i32_e32 v5, 31, v4
	v_lshlrev_b64 v[14:15], 2, v[4:5]
	v_mov_b32_e32 v5, s45
	v_add_co_u32_e32 v16, vcc, s44, v14
	v_addc_co_u32_e32 v17, vcc, v5, v15, vcc
	s_mov_b32 s6, s4
	s_mov_b32 s7, s5
	v_pk_mov_b32 v[12:13], s[6:7], s[6:7] op_sel:[0,1]
	v_mov_b32_e32 v5, s47
	v_add_co_u32_e32 v14, vcc, s46, v14
	v_pk_mov_b32 v[10:11], s[4:5], s[4:5] op_sel:[0,1]
	v_addc_co_u32_e32 v15, vcc, v5, v15, vcc
	s_mov_b32 s10, s8
	s_mov_b32 s11, s8
	v_add_u32_e32 v7, -16, v7
	global_store_dwordx4 v[16:17], v[10:13], off
	global_store_dwordx4 v[16:17], v[10:13], off offset:16
	global_store_dwordx4 v[16:17], v[10:13], off offset:32
	;; [unrolled: 1-line block ×3, first 2 shown]
	s_mov_b32 s9, s8
	v_pk_mov_b32 v[12:13], s[10:11], s[10:11] op_sel:[0,1]
	v_cmp_eq_u32_e32 vcc, 0, v7
	v_pk_mov_b32 v[10:11], s[8:9], s[8:9] op_sel:[0,1]
	s_or_b64 s[14:15], vcc, s[14:15]
	v_add_u32_e32 v4, 16, v4
	global_store_dwordx4 v[14:15], v[10:13], off
	global_store_dwordx4 v[14:15], v[10:13], off offset:16
	global_store_dwordx4 v[14:15], v[10:13], off offset:32
	;; [unrolled: 1-line block ×3, first 2 shown]
	s_andn2_b64 exec, exec, s[14:15]
	s_cbranch_execnz .LBB12_106
; %bb.107:                              ;   in Loop: Header=BB12_103 Depth=1
	s_or_b64 exec, exec, s[14:15]
	v_cmp_ne_u32_e32 vcc, v3, v6
	v_add_u32_e32 v2, v2, v6
	s_orn2_b64 s[6:7], vcc, exec
.LBB12_108:                             ;   in Loop: Header=BB12_103 Depth=1
	s_or_b64 exec, exec, s[0:1]
	s_and_b64 exec, exec, s[6:7]
	s_cbranch_execz .LBB12_102
; %bb.109:                              ;   in Loop: Header=BB12_103 Depth=1
	v_ashrrev_i32_e32 v3, 31, v2
	v_lshlrev_b64 v[6:7], 2, v[2:3]
	v_mov_b32_e32 v3, s45
	v_add_co_u32_e32 v4, vcc, s44, v6
	v_addc_co_u32_e32 v5, vcc, v3, v7, vcc
	v_mov_b32_e32 v3, s47
	v_add_co_u32_e32 v6, vcc, s46, v6
	v_addc_co_u32_e32 v7, vcc, v3, v7, vcc
	s_mov_b64 s[6:7], 0
.LBB12_110:                             ;   Parent Loop BB12_103 Depth=1
                                        ; =>  This Inner Loop Header: Depth=2
	global_store_dword v[6:7], v1, off
	v_add_co_u32_e32 v6, vcc, 4, v6
	v_mov_b32_e32 v3, s4
	v_add_u32_e32 v2, 1, v2
	v_addc_co_u32_e32 v7, vcc, 0, v7, vcc
	global_store_dword v[4:5], v3, off
	v_cmp_ge_i32_e32 vcc, v2, v8
	v_add_co_u32_e64 v4, s[0:1], 4, v4
	s_or_b64 s[6:7], vcc, s[6:7]
	v_addc_co_u32_e64 v5, vcc, 0, v5, s[0:1]
	s_andn2_b64 exec, exec, s[6:7]
	s_cbranch_execnz .LBB12_110
	s_branch .LBB12_102
.LBB12_111:
	s_endpgm
	.section	.rodata,"a",@progbits
	.p2align	6, 0x0
	.amdhsa_kernel _ZN5aiter22opus_moe_sorting_entryINS_16MoeSortingKernelINS_19MoeSortingProblemExIifLi1ELb0ELb1ELb1ELb1ELi0EEEEENS4_5KargsEEEvT0_
		.amdhsa_group_segment_fixed_size 0
		.amdhsa_private_segment_fixed_size 0
		.amdhsa_kernarg_size 400
		.amdhsa_user_sgpr_count 6
		.amdhsa_user_sgpr_private_segment_buffer 1
		.amdhsa_user_sgpr_dispatch_ptr 0
		.amdhsa_user_sgpr_queue_ptr 0
		.amdhsa_user_sgpr_kernarg_segment_ptr 1
		.amdhsa_user_sgpr_dispatch_id 0
		.amdhsa_user_sgpr_flat_scratch_init 0
		.amdhsa_user_sgpr_kernarg_preload_length 0
		.amdhsa_user_sgpr_kernarg_preload_offset 0
		.amdhsa_user_sgpr_private_segment_size 0
		.amdhsa_uses_dynamic_stack 0
		.amdhsa_system_sgpr_private_segment_wavefront_offset 0
		.amdhsa_system_sgpr_workgroup_id_x 1
		.amdhsa_system_sgpr_workgroup_id_y 0
		.amdhsa_system_sgpr_workgroup_id_z 0
		.amdhsa_system_sgpr_workgroup_info 0
		.amdhsa_system_vgpr_workitem_id 0
		.amdhsa_next_free_vgpr 31
		.amdhsa_next_free_sgpr 70
		.amdhsa_accum_offset 32
		.amdhsa_reserve_vcc 1
		.amdhsa_reserve_flat_scratch 0
		.amdhsa_float_round_mode_32 0
		.amdhsa_float_round_mode_16_64 0
		.amdhsa_float_denorm_mode_32 3
		.amdhsa_float_denorm_mode_16_64 3
		.amdhsa_dx10_clamp 1
		.amdhsa_ieee_mode 1
		.amdhsa_fp16_overflow 0
		.amdhsa_tg_split 0
		.amdhsa_exception_fp_ieee_invalid_op 0
		.amdhsa_exception_fp_denorm_src 0
		.amdhsa_exception_fp_ieee_div_zero 0
		.amdhsa_exception_fp_ieee_overflow 0
		.amdhsa_exception_fp_ieee_underflow 0
		.amdhsa_exception_fp_ieee_inexact 0
		.amdhsa_exception_int_div_zero 0
	.end_amdhsa_kernel
	.section	.text._ZN5aiter22opus_moe_sorting_entryINS_16MoeSortingKernelINS_19MoeSortingProblemExIifLi1ELb0ELb1ELb1ELb1ELi0EEEEENS4_5KargsEEEvT0_,"axG",@progbits,_ZN5aiter22opus_moe_sorting_entryINS_16MoeSortingKernelINS_19MoeSortingProblemExIifLi1ELb0ELb1ELb1ELb1ELi0EEEEENS4_5KargsEEEvT0_,comdat
.Lfunc_end12:
	.size	_ZN5aiter22opus_moe_sorting_entryINS_16MoeSortingKernelINS_19MoeSortingProblemExIifLi1ELb0ELb1ELb1ELb1ELi0EEEEENS4_5KargsEEEvT0_, .Lfunc_end12-_ZN5aiter22opus_moe_sorting_entryINS_16MoeSortingKernelINS_19MoeSortingProblemExIifLi1ELb0ELb1ELb1ELb1ELi0EEEEENS4_5KargsEEEvT0_
                                        ; -- End function
	.section	.AMDGPU.csdata,"",@progbits
; Kernel info:
; codeLenInByte = 4772
; NumSgprs: 74
; NumVgprs: 31
; NumAgprs: 0
; TotalNumVgprs: 31
; ScratchSize: 0
; MemoryBound: 0
; FloatMode: 240
; IeeeMode: 1
; LDSByteSize: 0 bytes/workgroup (compile time only)
; SGPRBlocks: 9
; VGPRBlocks: 3
; NumSGPRsForWavesPerEU: 74
; NumVGPRsForWavesPerEU: 31
; AccumOffset: 32
; Occupancy: 8
; WaveLimiterHint : 1
; COMPUTE_PGM_RSRC2:SCRATCH_EN: 0
; COMPUTE_PGM_RSRC2:USER_SGPR: 6
; COMPUTE_PGM_RSRC2:TRAP_HANDLER: 0
; COMPUTE_PGM_RSRC2:TGID_X_EN: 1
; COMPUTE_PGM_RSRC2:TGID_Y_EN: 0
; COMPUTE_PGM_RSRC2:TGID_Z_EN: 0
; COMPUTE_PGM_RSRC2:TIDIG_COMP_CNT: 0
; COMPUTE_PGM_RSRC3_GFX90A:ACCUM_OFFSET: 7
; COMPUTE_PGM_RSRC3_GFX90A:TG_SPLIT: 0
	.section	.text._ZN5aiter22opus_moe_sorting_entryINS_16MoeSortingKernelINS_19MoeSortingProblemExIifLi8ELb0ELb1ELb0ELb1ELi0EEEEENS4_5KargsEEEvT0_,"axG",@progbits,_ZN5aiter22opus_moe_sorting_entryINS_16MoeSortingKernelINS_19MoeSortingProblemExIifLi8ELb0ELb1ELb0ELb1ELi0EEEEENS4_5KargsEEEvT0_,comdat
	.protected	_ZN5aiter22opus_moe_sorting_entryINS_16MoeSortingKernelINS_19MoeSortingProblemExIifLi8ELb0ELb1ELb0ELb1ELi0EEEEENS4_5KargsEEEvT0_ ; -- Begin function _ZN5aiter22opus_moe_sorting_entryINS_16MoeSortingKernelINS_19MoeSortingProblemExIifLi8ELb0ELb1ELb0ELb1ELi0EEEEENS4_5KargsEEEvT0_
	.globl	_ZN5aiter22opus_moe_sorting_entryINS_16MoeSortingKernelINS_19MoeSortingProblemExIifLi8ELb0ELb1ELb0ELb1ELi0EEEEENS4_5KargsEEEvT0_
	.p2align	8
	.type	_ZN5aiter22opus_moe_sorting_entryINS_16MoeSortingKernelINS_19MoeSortingProblemExIifLi8ELb0ELb1ELb0ELb1ELi0EEEEENS4_5KargsEEEvT0_,@function
_ZN5aiter22opus_moe_sorting_entryINS_16MoeSortingKernelINS_19MoeSortingProblemExIifLi8ELb0ELb1ELb0ELb1ELi0EEEEENS4_5KargsEEEvT0_: ; @_ZN5aiter22opus_moe_sorting_entryINS_16MoeSortingKernelINS_19MoeSortingProblemExIifLi8ELb0ELb1ELb0ELb1ELi0EEEEENS4_5KargsEEEvT0_
; %bb.0:
	s_load_dwordx8 s[20:27], s[4:5], 0x20
	s_load_dwordx8 s[36:43], s[4:5], 0x40
	s_cmp_eq_u32 s6, 0
	s_cbranch_scc1 .LBB13_7
; %bb.1:
	s_waitcnt lgkmcnt(0)
	s_cmp_eq_u64 s[36:37], 0
	s_mov_b64 s[2:3], 0
	s_cbranch_scc1 .LBB13_6
; %bb.2:
	s_mul_i32 s1, s42, s40
	s_ashr_i32 s7, s43, 31
	s_mul_hi_i32 s0, s42, s40
	s_mul_i32 s7, s1, s7
	s_mul_hi_u32 s8, s1, s43
	s_add_i32 s7, s8, s7
	s_mul_i32 s0, s0, s43
	s_add_i32 s8, s7, s0
	s_ashr_i32 s0, s8, 31
	s_mul_i32 s1, s1, s43
	s_lshr_b32 s0, s0, 28
	s_add_u32 s0, s1, s0
	s_addc_u32 s1, s8, 0
	v_lshl_add_u32 v1, s6, 8, v0
	s_ashr_i64 s[8:9], s[0:1], 4
	v_add_u32_e32 v2, 0xffffff00, v1
	v_mov_b32_e32 v3, 0
	s_mov_b32 s7, 0
	v_cmp_gt_i64_e32 vcc, s[8:9], v[2:3]
	s_and_saveexec_b64 s[10:11], vcc
	s_cbranch_execz .LBB13_5
; %bb.3:
	s_load_dword s0, s[4:5], 0x90
	v_lshlrev_b64 v[4:5], 4, v[2:3]
	v_mov_b32_e32 v1, s37
	v_add_co_u32_e32 v8, vcc, s36, v4
	s_waitcnt lgkmcnt(0)
	s_lshl_b32 s0, s0, 8
	s_add_i32 s6, s0, 0xffffff00
	s_lshl_b64 s[12:13], s[6:7], 4
	v_pk_mov_b32 v[6:7], v[2:3], v[2:3] op_sel:[0,1]
	v_addc_co_u32_e32 v9, vcc, v1, v5, vcc
	s_mov_b64 s[14:15], 0
	v_mov_b32_e32 v2, v3
	v_mov_b32_e32 v4, v3
	;; [unrolled: 1-line block ×5, first 2 shown]
.LBB13_4:                               ; =>This Inner Loop Header: Depth=1
	v_add_co_u32_e32 v6, vcc, s6, v6
	v_addc_co_u32_e32 v7, vcc, v7, v1, vcc
	global_store_dwordx4 v[8:9], v[2:5], off
	v_add_co_u32_e32 v8, vcc, s12, v8
	v_cmp_le_i64_e64 s[0:1], s[8:9], v[6:7]
	s_or_b64 s[14:15], s[0:1], s[14:15]
	v_addc_co_u32_e32 v9, vcc, v9, v10, vcc
	s_andn2_b64 exec, exec, s[14:15]
	s_cbranch_execnz .LBB13_4
.LBB13_5:
	s_or_b64 exec, exec, s[10:11]
.LBB13_6:
	s_andn2_b64 vcc, exec, s[2:3]
	s_cbranch_vccz .LBB13_8
	s_branch .LBB13_111
.LBB13_7:
.LBB13_8:
	s_load_dwordx8 s[44:51], s[4:5], 0x64
	s_load_dwordx4 s[28:31], s[4:5], 0x0
	s_load_dwordx2 s[18:19], s[4:5], 0x10
	s_load_dwordx2 s[34:35], s[4:5], 0x84
	v_lshrrev_b32_e32 v1, 6, v0
	s_waitcnt lgkmcnt(0)
	s_add_i32 s33, s44, -2
	s_mul_i32 s53, s33, s41
	v_readfirstlane_b32 s16, v1
	s_add_i32 s52, s41, 1
	v_cmp_gt_i32_e64 s[0:1], s53, v0
	v_xad_u32 v8, v0, -1, s53
	s_and_saveexec_b64 s[2:3], s[0:1]
	s_cbranch_execz .LBB13_18
; %bb.9:
	s_movk_i32 s6, 0xff
	s_mov_b32 s5, 0
	s_mov_b32 s4, s34
	s_sub_i32 s10, s52, s51
	v_cmp_lt_u32_e32 vcc, s6, v8
	s_mov_b64 s[8:9], 0
                                        ; implicit-def: $vgpr1
                                        ; implicit-def: $sgpr11
	s_and_saveexec_b64 s[6:7], vcc
	s_xor_b64 s[6:7], exec, s[6:7]
	s_cbranch_execnz .LBB13_12
; %bb.10:
	s_or_saveexec_b64 s[6:7], s[6:7]
	v_mov_b32_e32 v2, s11
	s_xor_b64 exec, exec, s[6:7]
	s_cbranch_execnz .LBB13_15
.LBB13_11:
	s_or_b64 exec, exec, s[6:7]
	s_and_b64 exec, exec, s[8:9]
	s_cbranch_execnz .LBB13_16
	s_branch .LBB13_18
.LBB13_12:
	v_lshrrev_b32_e32 v1, 8, v8
	v_add_u32_e32 v4, 1, v1
	s_lshl_b32 s11, s41, 3
	v_and_b32_e32 v5, 0x1fffffe, v4
	v_add_u32_e32 v1, 0x100, v0
	s_add_i32 s8, s11, 0
	s_mov_b32 s12, s4
	s_mov_b32 s13, s35
	;; [unrolled: 1-line block ×4, first 2 shown]
	v_lshl_add_u32 v6, v0, 2, s8
	s_mov_b64 s[8:9], 0
	v_mov_b32_e32 v7, 0
	v_mov_b32_e32 v9, v5
	v_pk_mov_b32 v[2:3], v[0:1], v[0:1] op_sel:[0,1]
.LBB13_13:                              ; =>This Inner Loop Header: Depth=1
	v_mul_hi_u32 v1, s4, v2
	v_mul_hi_u32 v10, s12, v3
	v_add_u32_e32 v10, v3, v10
	v_add_u32_e32 v1, v2, v1
	v_add_u32_e32 v9, -2, v9
	v_lshrrev_b32_e32 v1, s13, v1
	v_lshrrev_b32_e32 v10, s14, v10
	v_cmp_eq_u32_e32 vcc, 0, v9
	v_mul_lo_u32 v10, v10, s15
	v_mul_lo_u32 v1, v1, s10
	v_add_u32_e32 v3, 0x200, v3
	v_add_u32_e32 v2, 0x200, v2
	s_or_b64 s[8:9], vcc, s[8:9]
	v_lshl_add_u32 v1, v1, 2, v6
	v_lshl_add_u32 v10, v10, 2, v6
	v_add_u32_e32 v6, 0x800, v6
	ds_write_b32 v1, v7 offset:8
	ds_write_b32 v10, v7 offset:1032
	s_andn2_b64 exec, exec, s[8:9]
	s_cbranch_execnz .LBB13_13
; %bb.14:
	s_or_b64 exec, exec, s[8:9]
	v_cmp_ne_u32_e32 vcc, v4, v5
	v_lshl_add_u32 v1, v5, 8, v0
	s_and_b64 s[8:9], vcc, exec
	s_or_saveexec_b64 s[6:7], s[6:7]
	v_mov_b32_e32 v2, s11
	s_xor_b64 exec, exec, s[6:7]
	s_cbranch_execz .LBB13_11
.LBB13_15:
	s_lshl_b32 s11, s41, 3
	v_mov_b32_e32 v2, s11
	s_or_b64 s[8:9], s[8:9], exec
	v_mov_b32_e32 v1, v0
	s_or_b64 exec, exec, s[6:7]
	s_and_b64 exec, exec, s[8:9]
	s_cbranch_execz .LBB13_18
.LBB13_16:
	v_lshl_add_u32 v2, v1, 2, v2
	v_mad_u64_u32 v[4:5], s[6:7], v1, s4, 0
	s_lshl_b64 s[4:5], s[4:5], 8
	s_lshl_b32 s8, s10, 2
	v_add3_u32 v2, v2, 0, 8
	s_mov_b64 s[6:7], 0
	v_mov_b32_e32 v3, 0
	v_mov_b32_e32 v6, s5
.LBB13_17:                              ; =>This Inner Loop Header: Depth=1
	v_add_co_u32_e32 v4, vcc, s4, v4
	v_add_u32_e32 v7, v1, v5
	v_add_u32_e32 v1, 0x100, v1
	v_addc_co_u32_e32 v5, vcc, v5, v6, vcc
	v_lshrrev_b32_e32 v7, s35, v7
	v_cmp_le_i32_e32 vcc, s53, v1
	v_mad_u64_u32 v[10:11], s[10:11], s8, v7, v[2:3]
	v_add_u32_e32 v2, 0x400, v2
	s_or_b64 s[6:7], vcc, s[6:7]
	ds_write_b32 v10, v3
	s_andn2_b64 exec, exec, s[6:7]
	s_cbranch_execnz .LBB13_17
.LBB13_18:
	s_or_b64 exec, exec, s[2:3]
	s_lshl_b32 s2, s52, 3
	s_add_i32 s54, s2, 0
	s_cmp_gt_i32 s40, 0
	s_mul_i32 s55, s48, s33
	s_mov_b32 s5, 0
	s_cselect_b64 s[12:13], -1, 0
	s_cmp_lt_i32 s40, 1
	v_cmp_gt_i32_e32 vcc, s55, v0
	s_waitcnt lgkmcnt(0)
	s_barrier
	s_cbranch_scc1 .LBB13_26
; %bb.19:
	s_mov_b32 s4, s49
	v_mad_u64_u32 v[2:3], s[2:3], v0, s49, 0
	s_lshl_b64 s[6:7], s[4:5], 8
	v_mov_b32_e32 v5, 0
	s_mov_b32 s4, 0
	s_branch .LBB13_21
.LBB13_20:                              ;   in Loop: Header=BB13_21 Depth=1
	s_or_b64 exec, exec, s[8:9]
	s_add_i32 s4, s4, s33
	s_add_i32 s5, s5, s55
	s_cmp_ge_i32 s4, s40
	s_barrier
	s_cbranch_scc1 .LBB13_26
.LBB13_21:                              ; =>This Loop Header: Depth=1
                                        ;     Child Loop BB13_24 Depth 2
	s_and_saveexec_b64 s[8:9], vcc
	s_cbranch_execz .LBB13_20
; %bb.22:                               ;   in Loop: Header=BB13_21 Depth=1
	s_mov_b64 s[10:11], 0
	v_pk_mov_b32 v[6:7], v[2:3], v[2:3] op_sel:[0,1]
	v_mov_b32_e32 v1, v0
	s_branch .LBB13_24
.LBB13_23:                              ;   in Loop: Header=BB13_24 Depth=2
	s_or_b64 exec, exec, s[14:15]
	v_add_u32_e32 v1, 0x100, v1
	v_cmp_le_i32_e64 s[2:3], s55, v1
	v_mov_b32_e32 v4, s7
	s_or_b64 s[10:11], s[2:3], s[10:11]
	v_add_co_u32_e64 v6, s[2:3], s6, v6
	v_addc_co_u32_e64 v7, s[2:3], v7, v4, s[2:3]
	s_waitcnt lgkmcnt(0)
	s_andn2_b64 exec, exec, s[10:11]
	s_cbranch_execz .LBB13_20
.LBB13_24:                              ;   Parent Loop BB13_21 Depth=1
                                        ; =>  This Inner Loop Header: Depth=2
	v_add_u32_e32 v4, v1, v7
	v_lshrrev_b32_e32 v9, s50, v4
	v_add_u32_e32 v4, s4, v9
	v_cmp_gt_i32_e64 s[2:3], s40, v4
	s_and_saveexec_b64 s[14:15], s[2:3]
	s_cbranch_execz .LBB13_23
; %bb.25:                               ;   in Loop: Header=BB13_24 Depth=2
	v_add_u32_e32 v4, s5, v1
	v_lshlrev_b64 v[10:11], 2, v[4:5]
	v_mov_b32_e32 v4, s29
	v_add_co_u32_e64 v10, s[2:3], s28, v10
	v_addc_co_u32_e64 v11, s[2:3], v4, v11, s[2:3]
	global_load_dword v4, v[10:11], off
	v_mul_lo_u32 v9, v9, s52
	v_lshlrev_b32_e32 v9, 2, v9
	s_waitcnt vmcnt(0)
	v_lshlrev_b32_e32 v4, 2, v4
	v_add3_u32 v4, s54, v4, v9
	ds_read_b32 v9, v4
	s_waitcnt lgkmcnt(0)
	v_add_u32_e32 v9, 1, v9
	ds_write_b32 v4, v9
	s_branch .LBB13_23
.LBB13_26:
	v_cmp_eq_u32_e32 vcc, 0, v0
	s_and_saveexec_b64 s[2:3], vcc
	s_cbranch_execz .LBB13_28
; %bb.27:
	v_mov_b32_e32 v1, 0
	ds_write_b32 v1, v1
.LBB13_28:
	s_or_b64 exec, exec, s[2:3]
	v_mbcnt_lo_u32_b32 v1, -1, 0
	v_and_b32_e32 v15, 7, v0
	v_mbcnt_hi_u32_b32 v9, -1, v1
	v_lshrrev_b32_e32 v14, 3, v0
	v_mul_lo_u32 v1, s52, v15
	v_cmp_gt_i32_e64 s[2:3], s41, v14
	v_lshlrev_b32_e32 v10, 2, v1
	v_lshlrev_b32_e32 v11, 2, v14
	s_and_saveexec_b64 s[8:9], s[2:3]
	s_cbranch_execz .LBB13_36
; %bb.29:
	s_cmp_gt_i32 s44, 2
	s_cselect_b64 s[6:7], -1, 0
	s_lshl_b32 s10, s41, 3
	v_lshlrev_b32_e32 v3, 2, v9
	v_add3_u32 v4, v10, s10, v11
	s_lshl_b32 s17, s41, 8
	s_lshl_b32 s36, s41, 5
	v_cndmask_b32_e64 v5, 0, 1, s[6:7]
	v_xor_b32_e32 v1, 4, v3
	v_xor_b32_e32 v2, 8, v3
	;; [unrolled: 1-line block ×3, first 2 shown]
	v_cmp_eq_u32_e64 s[4:5], 0, v15
	v_add3_u32 v4, v4, 0, 8
	s_addk_i32 s17, 0x100
	s_add_i32 s37, s36, 32
	s_mov_b64 s[10:11], 0
	v_cmp_ne_u32_e64 s[6:7], 1, v5
	v_mov_b32_e32 v5, v14
	s_branch .LBB13_31
.LBB13_30:                              ;   in Loop: Header=BB13_31 Depth=1
	s_or_b64 exec, exec, s[14:15]
	v_add_u32_e32 v5, 32, v5
	v_cmp_le_i32_e32 vcc, s41, v5
	s_or_b64 s[10:11], vcc, s[10:11]
	v_add_u32_e32 v4, 0x80, v4
	s_andn2_b64 exec, exec, s[10:11]
	s_cbranch_execz .LBB13_36
.LBB13_31:                              ; =>This Loop Header: Depth=1
                                        ;     Child Loop BB13_33 Depth 2
	s_and_b64 vcc, exec, s[6:7]
	v_mov_b32_e32 v6, 0
	s_cbranch_vccnz .LBB13_34
; %bb.32:                               ;   in Loop: Header=BB13_31 Depth=1
	s_mov_b32 s14, 0
	v_mov_b32_e32 v6, 0
	v_mov_b32_e32 v7, v4
.LBB13_33:                              ;   Parent Loop BB13_31 Depth=1
                                        ; =>  This Inner Loop Header: Depth=2
	ds_read_b32 v12, v7
	v_add_u32_e32 v13, s36, v7
	v_add_u32_e32 v16, s37, v13
	ds_read_b32 v13, v13 offset:32
	v_add_u32_e32 v17, s37, v16
	ds_read_b32 v16, v16 offset:32
	;; [unrolled: 2-line block ×4, first 2 shown]
	ds_read_b32 v20, v19 offset:32
	v_add_u32_e32 v19, s37, v19
	s_waitcnt lgkmcnt(5)
	ds_bpermute_b32 v21, v1, v12
	ds_read_b32 v22, v19 offset:32
	v_add_u32_e32 v19, s37, v19
	s_waitcnt lgkmcnt(6)
	ds_bpermute_b32 v23, v1, v13
	ds_read_b32 v19, v19 offset:32
	s_waitcnt lgkmcnt(7)
	ds_bpermute_b32 v24, v1, v16
	s_waitcnt lgkmcnt(7)
	ds_bpermute_b32 v25, v1, v17
	;; [unrolled: 2-line block ×3, first 2 shown]
	s_waitcnt lgkmcnt(6)
	v_add_u32_e32 v12, v21, v12
	ds_bpermute_b32 v21, v1, v20
	ds_bpermute_b32 v27, v2, v12
	s_waitcnt lgkmcnt(6)
	v_add_u32_e32 v13, v23, v13
	ds_bpermute_b32 v23, v1, v22
	ds_bpermute_b32 v28, v2, v13
	;; [unrolled: 4-line block ×3, first 2 shown]
	s_waitcnt lgkmcnt(7)
	v_add_u32_e32 v17, v25, v17
	ds_bpermute_b32 v25, v2, v17
	s_waitcnt lgkmcnt(7)
	v_add_u32_e32 v18, v26, v18
	ds_bpermute_b32 v26, v2, v18
	s_waitcnt lgkmcnt(7)
	v_add_u32_e32 v20, v21, v20
	s_waitcnt lgkmcnt(6)
	v_add_u32_e32 v12, v27, v12
	ds_bpermute_b32 v21, v2, v20
	s_waitcnt lgkmcnt(6)
	v_add_u32_e32 v22, v23, v22
	ds_bpermute_b32 v23, v3, v12
	;; [unrolled: 3-line block ×5, first 2 shown]
	ds_bpermute_b32 v29, v3, v16
	s_waitcnt lgkmcnt(7)
	v_add_u32_e32 v17, v25, v17
	ds_bpermute_b32 v25, v3, v17
	s_waitcnt lgkmcnt(7)
	v_add_u32_e32 v18, v26, v18
	;; [unrolled: 3-line block ×3, first 2 shown]
	s_waitcnt lgkmcnt(6)
	v_add3_u32 v6, v12, v6, v23
	ds_bpermute_b32 v12, v3, v20
	s_waitcnt lgkmcnt(6)
	v_add_u32_e32 v21, v27, v22
	s_waitcnt lgkmcnt(5)
	v_add3_u32 v6, v6, v13, v24
	ds_bpermute_b32 v13, v3, v21
	s_waitcnt lgkmcnt(5)
	v_add_u32_e32 v19, v28, v19
	s_waitcnt lgkmcnt(4)
	v_add3_u32 v6, v6, v16, v29
	ds_bpermute_b32 v16, v3, v19
	s_waitcnt lgkmcnt(4)
	v_add3_u32 v6, v6, v17, v25
	s_waitcnt lgkmcnt(3)
	v_add3_u32 v6, v6, v18, v26
	;; [unrolled: 2-line block ×3, first 2 shown]
	s_add_i32 s14, s14, 64
	s_waitcnt lgkmcnt(1)
	v_add3_u32 v6, v6, v21, v13
	v_add_u32_e32 v7, s17, v7
	s_cmp_lt_i32 s14, s33
	s_waitcnt lgkmcnt(0)
	v_add3_u32 v6, v6, v19, v16
	s_cbranch_scc1 .LBB13_33
.LBB13_34:                              ;   in Loop: Header=BB13_31 Depth=1
	s_and_saveexec_b64 s[14:15], s[4:5]
	s_cbranch_execz .LBB13_30
; %bb.35:                               ;   in Loop: Header=BB13_31 Depth=1
	v_lshl_add_u32 v7, v5, 2, 0
	ds_write_b32 v7, v6 offset:4
	s_branch .LBB13_30
.LBB13_36:
	s_or_b64 exec, exec, s[8:9]
	s_lshl_b32 s17, s41, 2
	s_add_i32 s36, s17, 0
	v_mov_b32_e32 v1, 0
	v_mov_b32_e32 v2, s36
	v_cmp_gt_i32_e64 s[4:5], s41, v0
	ds_write_b32 v2, v1 offset:4
	s_and_saveexec_b64 s[6:7], s[4:5]
	s_cbranch_execz .LBB13_46
; %bb.37:
	v_xad_u32 v1, v0, -1, s41
	s_movk_i32 s8, 0xff
	v_cmp_lt_u32_e32 vcc, s8, v1
	s_mov_b64 s[10:11], 0
                                        ; implicit-def: $vgpr2
	s_and_saveexec_b64 s[8:9], vcc
	s_xor_b64 s[8:9], exec, s[8:9]
	s_cbranch_execnz .LBB13_40
; %bb.38:
	s_or_saveexec_b64 s[8:9], s[8:9]
	v_mov_b32_e32 v1, s17
	s_xor_b64 exec, exec, s[8:9]
	s_cbranch_execnz .LBB13_43
.LBB13_39:
	s_or_b64 exec, exec, s[8:9]
	s_and_b64 exec, exec, s[10:11]
	s_cbranch_execnz .LBB13_44
	s_branch .LBB13_46
.LBB13_40:
	v_lshrrev_b32_e32 v1, 8, v1
	v_add_u32_e32 v6, 1, v1
	v_and_b32_e32 v7, 0x1fffffe, v6
	v_add_u32_e32 v1, 0x100, v0
	v_lshlrev_b32_e32 v2, 2, v0
	v_add3_u32 v12, s36, v2, 8
	v_mov_b32_e32 v13, s19
	v_mov_b32_e32 v3, 0
	;; [unrolled: 1-line block ×3, first 2 shown]
	v_pk_mov_b32 v[4:5], v[0:1], v[0:1] op_sel:[0,1]
.LBB13_41:                              ; =>This Inner Loop Header: Depth=1
	v_mov_b32_e32 v2, v4
	v_lshlrev_b64 v[18:19], 2, v[2:3]
	v_mov_b32_e32 v2, v5
	v_add_co_u32_e32 v18, vcc, s18, v18
	v_addc_co_u32_e32 v19, vcc, v13, v19, vcc
	v_lshlrev_b64 v[20:21], 2, v[2:3]
	v_add_co_u32_e32 v20, vcc, s18, v20
	v_addc_co_u32_e32 v21, vcc, v13, v21, vcc
	global_load_dword v1, v[18:19], off
	global_load_dword v2, v[20:21], off
	v_add_u32_e32 v16, -2, v16
	v_cmp_eq_u32_e32 vcc, 0, v16
	v_add_u32_e32 v4, 0x200, v4
	v_add_u32_e32 v5, 0x200, v5
	s_or_b64 s[10:11], vcc, s[10:11]
	s_waitcnt vmcnt(0)
	ds_write2st64_b32 v12, v1, v2 offset1:4
	v_add_u32_e32 v12, 0x800, v12
	s_andn2_b64 exec, exec, s[10:11]
	s_cbranch_execnz .LBB13_41
; %bb.42:
	s_or_b64 exec, exec, s[10:11]
	v_cmp_ne_u32_e32 vcc, v6, v7
	v_lshl_add_u32 v2, v7, 8, v0
	s_and_b64 s[10:11], vcc, exec
	s_or_saveexec_b64 s[8:9], s[8:9]
	v_mov_b32_e32 v1, s17
	s_xor_b64 exec, exec, s[8:9]
	s_cbranch_execz .LBB13_39
.LBB13_43:
	v_mov_b32_e32 v1, s17
	s_or_b64 s[10:11], s[10:11], exec
	v_mov_b32_e32 v2, v0
	s_or_b64 exec, exec, s[8:9]
	s_and_b64 exec, exec, s[10:11]
	s_cbranch_execz .LBB13_46
.LBB13_44:
	v_mov_b32_e32 v3, 0
	v_lshlrev_b64 v[4:5], 2, v[2:3]
	v_lshl_add_u32 v1, v2, 2, v1
	v_mov_b32_e32 v3, s19
	v_add_co_u32_e32 v4, vcc, s18, v4
	v_add3_u32 v1, v1, 0, 8
	v_addc_co_u32_e32 v5, vcc, v3, v5, vcc
	s_mov_b64 s[8:9], 0
.LBB13_45:                              ; =>This Inner Loop Header: Depth=1
	global_load_dword v3, v[4:5], off
	v_add_co_u32_e32 v4, vcc, 0x400, v4
	v_add_u32_e32 v2, 0x100, v2
	v_addc_co_u32_e32 v5, vcc, 0, v5, vcc
	v_cmp_le_i32_e32 vcc, s41, v2
	s_or_b64 s[8:9], vcc, s[8:9]
	s_waitcnt vmcnt(0)
	ds_write_b32 v1, v3
	v_add_u32_e32 v1, 0x400, v1
	s_andn2_b64 exec, exec, s[8:9]
	s_cbranch_execnz .LBB13_45
.LBB13_46:
	s_or_b64 exec, exec, s[6:7]
	s_add_i32 s56, s36, 4
	s_cmp_lg_u32 s16, 0
	s_waitcnt lgkmcnt(0)
	s_barrier
	s_cbranch_scc1 .LBB13_57
; %bb.47:
	s_mov_b32 s16, 0
	s_cmp_lt_i32 s41, 1
	v_mov_b32_e32 v2, 0
	s_cbranch_scc1 .LBB13_54
; %bb.48:
	v_lshlrev_b32_e32 v2, 2, v9
	v_and_b32_e32 v3, 0xc0, v2
	v_cmp_eq_u32_e32 vcc, 0, v9
	s_add_i32 s37, s45, -1
	v_add_u32_e32 v1, -4, v3
	v_cmp_lt_u32_e64 s[6:7], 15, v9
	v_add_u32_e32 v3, 0xffffffbc, v3
	v_cmp_lt_u32_e64 s[8:9], 31, v9
	v_add_u32_e32 v4, 0, v2
	s_branch .LBB13_50
.LBB13_49:                              ;   in Loop: Header=BB13_50 Depth=1
	s_or_b64 exec, exec, s[14:15]
	s_add_i32 s16, s16, 64
	s_cmp_lt_i32 s16, s41
	v_add_u32_e32 v4, 0x100, v4
	s_waitcnt lgkmcnt(0)
	s_cbranch_scc0 .LBB13_54
.LBB13_50:                              ; =>This Inner Loop Header: Depth=1
	ds_read_b32 v7, v4 offset:4
	v_mov_b32_e32 v2, s16
	v_add_u32_e32 v5, s17, v4
	ds_read_b32 v6, v5 offset:8
	v_cndmask_b32_e32 v2, 0, v2, vcc
	s_waitcnt lgkmcnt(1)
	v_add_u32_e32 v7, s37, v7
	v_lshlrev_b32_e32 v2, 2, v2
	v_mul_hi_u32 v13, v7, s46
	v_add_u32_e32 v12, 0, v2
	v_add_u32_e32 v7, v7, v13
	v_lshrrev_b32_e32 v13, s47, v7
	v_add_u32_e32 v2, s56, v2
	ds_read_b32 v12, v12
	ds_read_b32 v7, v2
	v_mul_lo_u32 v2, v13, s45
	s_waitcnt lgkmcnt(2)
	v_cmp_ne_u32_e64 s[10:11], 0, v6
	v_cndmask_b32_e64 v2, 0, v2, s[10:11]
	s_waitcnt lgkmcnt(1)
	v_add_u32_e32 v2, v2, v12
	v_add_u32_e32 v13, s16, v9
	v_cmp_gt_i32_e64 s[10:11], s41, v13
	v_add_u32_dpp v2, v2, v2 row_shr:1 row_mask:0xf bank_mask:0xf bound_ctrl:1
	s_nop 1
	v_add_u32_dpp v2, v2, v2 row_shr:2 row_mask:0xf bank_mask:0xf bound_ctrl:1
	s_nop 1
	;; [unrolled: 2-line block ×3, first 2 shown]
	v_add_u32_dpp v2, v2, v2 row_shr:8 row_mask:0xf bank_mask:0xf bound_ctrl:1
	ds_bpermute_b32 v12, v1, v2
	s_waitcnt lgkmcnt(0)
	v_cndmask_b32_e64 v12, 0, v12, s[6:7]
	v_add_u32_e32 v2, v2, v12
	ds_bpermute_b32 v12, v3, v2
	s_waitcnt lgkmcnt(0)
	v_cndmask_b32_e64 v12, 0, v12, s[8:9]
	v_add_u32_e32 v2, v2, v12
	s_and_saveexec_b64 s[14:15], s[10:11]
	s_cbranch_execz .LBB13_52
; %bb.51:                               ;   in Loop: Header=BB13_50 Depth=1
	ds_write_b32 v4, v2 offset:4
.LBB13_52:                              ;   in Loop: Header=BB13_50 Depth=1
	s_or_b64 exec, exec, s[14:15]
	v_add_u32_e32 v6, v6, v7
	s_nop 1
	v_add_u32_dpp v6, v6, v6 row_shr:1 row_mask:0xf bank_mask:0xf bound_ctrl:1
	s_nop 1
	v_add_u32_dpp v6, v6, v6 row_shr:2 row_mask:0xf bank_mask:0xf bound_ctrl:1
	;; [unrolled: 2-line block ×4, first 2 shown]
	ds_bpermute_b32 v7, v1, v6
	s_waitcnt lgkmcnt(0)
	v_cndmask_b32_e64 v7, 0, v7, s[6:7]
	v_add_u32_e32 v6, v7, v6
	ds_bpermute_b32 v7, v3, v6
	s_and_saveexec_b64 s[14:15], s[10:11]
	s_cbranch_execz .LBB13_49
; %bb.53:                               ;   in Loop: Header=BB13_50 Depth=1
	s_waitcnt lgkmcnt(0)
	v_cndmask_b32_e64 v7, 0, v7, s[8:9]
	v_add_u32_e32 v6, v7, v6
	ds_write_b32 v5, v6 offset:8
	s_branch .LBB13_49
.LBB13_54:
	v_add_u32_e32 v1, s16, v9
	v_subrev_u32_e32 v1, 63, v1
	v_cmp_eq_u32_e32 vcc, s41, v1
	s_and_saveexec_b64 s[6:7], vcc
	s_cbranch_execz .LBB13_56
; %bb.55:
	v_mov_b32_e32 v1, 0
	v_mov_b32_e32 v3, s40
	global_store_dwordx2 v1, v[2:3], s[26:27]
.LBB13_56:
	s_or_b64 exec, exec, s[6:7]
.LBB13_57:
	s_cmp_eq_u64 s[38:39], 0
	s_barrier
	s_cbranch_scc1 .LBB13_64
; %bb.58:
	s_mul_i32 s14, s48, s40
	v_cmp_gt_i32_e32 vcc, s14, v0
	s_and_saveexec_b64 s[8:9], vcc
	s_cbranch_execz .LBB13_63
; %bb.59:
	v_lshlrev_b32_e32 v1, 2, v0
	v_mov_b32_e32 v3, s29
	v_add_co_u32_e32 v2, vcc, s28, v1
	v_addc_co_u32_e32 v3, vcc, 0, v3, vcc
	v_mov_b32_e32 v5, s39
	v_add_co_u32_e32 v4, vcc, s38, v1
	v_addc_co_u32_e32 v5, vcc, 0, v5, vcc
	s_mov_b64 s[10:11], 0
	v_mov_b32_e32 v1, s19
	v_mov_b32_e32 v12, v0
	s_branch .LBB13_61
.LBB13_60:                              ;   in Loop: Header=BB13_61 Depth=1
	s_or_b64 exec, exec, s[6:7]
	v_add_co_u32_e32 v2, vcc, 0x400, v2
	v_add_u32_e32 v12, 0x100, v12
	v_addc_co_u32_e32 v3, vcc, 0, v3, vcc
	s_waitcnt lgkmcnt(0)
	global_store_dword v[4:5], v7, off
	v_add_co_u32_e32 v4, vcc, 0x400, v4
	v_cmp_le_i32_e64 s[6:7], s14, v12
	s_or_b64 s[10:11], s[6:7], s[10:11]
	v_addc_co_u32_e32 v5, vcc, 0, v5, vcc
	s_andn2_b64 exec, exec, s[10:11]
	s_cbranch_execz .LBB13_63
.LBB13_61:                              ; =>This Inner Loop Header: Depth=1
	global_load_dword v6, v[2:3], off
	s_waitcnt vmcnt(0)
	v_ashrrev_i32_e32 v7, 31, v6
	v_lshlrev_b64 v[16:17], 2, v[6:7]
	v_add_co_u32_e32 v16, vcc, s18, v16
	v_addc_co_u32_e32 v17, vcc, v1, v17, vcc
	global_load_dword v7, v[16:17], off
	s_waitcnt vmcnt(0)
	v_cmp_ne_u32_e32 vcc, 0, v7
	v_mov_b32_e32 v7, -1
	s_and_saveexec_b64 s[6:7], vcc
	s_cbranch_execz .LBB13_60
; %bb.62:                               ;   in Loop: Header=BB13_61 Depth=1
	v_lshl_add_u32 v6, v6, 2, s56
	ds_read_b32 v7, v6
	s_branch .LBB13_60
.LBB13_63:
	s_or_b64 exec, exec, s[8:9]
	s_barrier
.LBB13_64:
	s_and_saveexec_b64 s[8:9], s[4:5]
	s_cbranch_execz .LBB13_71
; %bb.65:
	s_mov_b64 s[10:11], 0
	v_mov_b32_e32 v3, 0
	v_mov_b32_e32 v4, v0
	s_branch .LBB13_67
.LBB13_66:                              ;   in Loop: Header=BB13_67 Depth=1
	s_or_b64 exec, exec, s[14:15]
	v_add_u32_e32 v4, 0x100, v4
	v_cmp_le_i32_e32 vcc, s41, v4
	s_or_b64 s[10:11], vcc, s[10:11]
	s_andn2_b64 exec, exec, s[10:11]
	s_cbranch_execz .LBB13_71
.LBB13_67:                              ; =>This Loop Header: Depth=1
                                        ;     Child Loop BB13_70 Depth 2
	s_waitcnt lgkmcnt(1)
	v_lshlrev_b32_e32 v1, 2, v4
	v_add_u32_e32 v2, 0, v1
	ds_read2_b32 v[6:7], v2 offset1:1
	v_add_u32_e32 v2, s56, v1
	ds_read_b32 v1, v2
	s_waitcnt lgkmcnt(1)
	v_cmp_ne_u32_e32 vcc, v6, v7
	ds_write_b32 v2, v6
	s_and_saveexec_b64 s[14:15], vcc
	s_cbranch_execz .LBB13_66
; %bb.68:                               ;   in Loop: Header=BB13_67 Depth=1
	v_mov_b32_e32 v5, v3
	v_lshlrev_b64 v[12:13], 2, v[4:5]
	v_mov_b32_e32 v2, s19
	v_add_co_u32_e32 v12, vcc, s18, v12
	v_addc_co_u32_e32 v13, vcc, v2, v13, vcc
	global_load_dword v2, v[12:13], off
	v_cmp_lt_i32_e64 s[6:7], v6, v7
	s_waitcnt vmcnt(0)
	v_cmp_ne_u32_e32 vcc, 0, v2
	s_and_b64 s[6:7], s[6:7], vcc
	s_and_b64 exec, exec, s[6:7]
	s_cbranch_execz .LBB13_66
; %bb.69:                               ;   in Loop: Header=BB13_67 Depth=1
	s_mov_b64 s[6:7], 0
.LBB13_70:                              ;   Parent Loop BB13_67 Depth=1
                                        ; =>  This Inner Loop Header: Depth=2
	v_mul_hi_u32 v2, s46, v6
	v_add_u32_e32 v2, v6, v2
	v_add_u32_e32 v6, s45, v6
	v_lshrrev_b32_e32 v2, s47, v2
	v_cmp_ge_i32_e32 vcc, v6, v7
	v_lshlrev_b64 v[12:13], 2, v[2:3]
	v_mov_b32_e32 v5, s25
	s_or_b64 s[6:7], vcc, s[6:7]
	v_add_co_u32_e32 v12, vcc, s24, v12
	v_addc_co_u32_e32 v13, vcc, v5, v13, vcc
	s_waitcnt lgkmcnt(1)
	global_store_dword v[12:13], v1, off
	s_andn2_b64 exec, exec, s[6:7]
	s_cbranch_execnz .LBB13_70
	s_branch .LBB13_66
.LBB13_71:
	s_or_b64 exec, exec, s[8:9]
	s_waitcnt lgkmcnt(1)
	v_mov_b32_e32 v1, s36
	s_waitcnt lgkmcnt(0)
	s_barrier
	ds_read_b32 v1, v1
	s_add_i32 s6, s36, s17
	v_mov_b32_e32 v2, s6
	s_andn2_b64 vcc, exec, s[12:13]
	s_waitcnt lgkmcnt(0)
	ds_write_b32 v2, v1 offset:4
	s_cbranch_vccnz .LBB13_100
; %bb.72:
	s_mov_b32 s24, s34
	s_sub_i32 s34, s52, s51
	s_add_u32 s59, s20, -4
	s_addc_u32 s60, s21, -1
	v_and_b32_e32 v1, 8, v9
	s_add_u32 s61, s30, -4
	v_cmp_eq_u32_e64 s[8:9], 0, v1
	v_lshrrev_b32_e32 v1, 8, v8
	s_addc_u32 s62, s31, -1
	v_add_u32_e32 v3, 1, v1
	s_add_u32 s63, s22, -4
	s_mov_b32 s25, 0
	v_and_b32_e32 v18, 0x1fffffe, v3
	s_addc_u32 s64, s23, -1
	s_lshl_b32 s36, s41, 3
	s_mov_b32 s14, s49
	s_mov_b32 s15, s25
	v_lshlrev_b32_e32 v16, 2, v0
	s_movk_i32 s10, 0xff
	v_lshl_add_u32 v2, v18, 8, v0
	v_cmp_ne_u32_e64 s[12:13], v3, v18
	s_add_i32 s16, s36, 0
	v_mov_b32_e32 v5, 0
	v_mov_b32_e32 v4, v0
	v_add3_u32 v3, v10, s36, v11
	s_lshl_b32 s67, s41, 5
	v_cmp_gt_i32_e32 vcc, s55, v0
	v_cmp_gt_i32_e64 s[6:7], s33, v15
	v_or_b32_e32 v17, 28, v16
	v_cmp_lt_u32_e64 s[10:11], s10, v8
	v_add_u32_e32 v1, 0x100, v0
	s_mov_b32 s51, s24
	s_mov_b32 s57, s35
	;; [unrolled: 1-line block ×3, first 2 shown]
	v_add_u32_e32 v19, s16, v16
	s_lshl_b32 s65, s34, 2
	s_lshl_b64 s[26:27], s[24:25], 8
	s_sub_i32 s66, 0, s48
	v_pk_mov_b32 v[6:7], v[4:5], v[4:5] op_sel:[0,1]
	v_mad_u64_u32 v[8:9], s[16:17], v0, s49, 0
	s_lshl_b64 s[30:31], s[14:15], 8
	v_mul_lo_u32 v20, s48, v15
	s_lshl_b32 s49, s48, 3
	v_add3_u32 v21, v3, 0, 8
	s_add_i32 s67, s67, 32
	v_lshlrev_b32_e32 v22, 2, v2
	s_mov_b32 s68, 0x4020100
	s_mov_b32 s69, s25
	s_branch .LBB13_74
.LBB13_73:                              ;   in Loop: Header=BB13_74 Depth=1
	s_or_b64 exec, exec, s[36:37]
	s_add_i32 s69, s69, s33
	s_add_i32 s25, s25, s55
	s_cmp_ge_i32 s69, s40
	v_add_u32_e32 v20, s55, v20
	s_waitcnt lgkmcnt(0)
	s_barrier
	s_cbranch_scc1 .LBB13_100
.LBB13_74:                              ; =>This Loop Header: Depth=1
                                        ;     Child Loop BB13_77 Depth 2
                                        ;     Child Loop BB13_83 Depth 2
	;; [unrolled: 1-line block ×4, first 2 shown]
                                        ;       Child Loop BB13_98 Depth 3
	s_and_saveexec_b64 s[16:17], s[0:1]
	s_cbranch_execz .LBB13_84
; %bb.75:                               ;   in Loop: Header=BB13_74 Depth=1
	s_mov_b64 s[14:15], -1
	v_mov_b32_e32 v23, v0
	v_mov_b32_e32 v3, v16
	v_pk_mov_b32 v[12:13], v[6:7], v[6:7] op_sel:[0,1]
	s_and_saveexec_b64 s[36:37], s[10:11]
	s_cbranch_execz .LBB13_81
; %bb.76:                               ;   in Loop: Header=BB13_74 Depth=1
	s_mov_b64 s[38:39], 0
	v_mov_b32_e32 v3, v18
	v_mov_b32_e32 v4, v19
	v_pk_mov_b32 v[10:11], v[0:1], v[0:1] op_sel:[0,1]
.LBB13_77:                              ;   Parent Loop BB13_74 Depth=1
                                        ; =>  This Inner Loop Header: Depth=2
	v_mul_hi_u32 v12, s24, v10
	v_mul_hi_u32 v13, s51, v11
	v_add_u32_e32 v13, v11, v13
	v_add_u32_e32 v12, v10, v12
	v_add_u32_e32 v3, -2, v3
	v_lshrrev_b32_e32 v12, s57, v12
	v_lshrrev_b32_e32 v13, s35, v13
	v_cmp_eq_u32_e64 s[14:15], 0, v3
	v_mul_lo_u32 v13, v13, s58
	v_mul_lo_u32 v12, v12, s34
	v_add_u32_e32 v11, 0x200, v11
	v_add_u32_e32 v10, 0x200, v10
	s_or_b64 s[38:39], s[14:15], s[38:39]
	v_lshl_add_u32 v12, v12, 2, v4
	v_lshl_add_u32 v13, v13, 2, v4
	v_add_u32_e32 v4, 0x800, v4
	ds_write_b32 v12, v5 offset:8
	ds_write_b32 v13, v5 offset:1032
	s_andn2_b64 exec, exec, s[38:39]
	s_cbranch_execnz .LBB13_77
; %bb.78:                               ;   in Loop: Header=BB13_74 Depth=1
	s_or_b64 exec, exec, s[38:39]
	s_mov_b64 s[14:15], 0
                                        ; implicit-def: $vgpr12_vgpr13
	s_and_saveexec_b64 s[38:39], s[12:13]
	s_xor_b64 s[38:39], exec, s[38:39]
; %bb.79:                               ;   in Loop: Header=BB13_74 Depth=1
	v_mov_b32_e32 v3, v5
	s_mov_b64 s[14:15], exec
	v_pk_mov_b32 v[12:13], v[2:3], v[2:3] op_sel:[0,1]
; %bb.80:                               ;   in Loop: Header=BB13_74 Depth=1
	s_or_b64 exec, exec, s[38:39]
	s_orn2_b64 s[14:15], s[14:15], exec
	v_mov_b32_e32 v23, v2
	v_mov_b32_e32 v3, v22
.LBB13_81:                              ;   in Loop: Header=BB13_74 Depth=1
	s_or_b64 exec, exec, s[36:37]
	s_and_b64 exec, exec, s[14:15]
	s_cbranch_execz .LBB13_84
; %bb.82:                               ;   in Loop: Header=BB13_74 Depth=1
	v_mad_u64_u32 v[10:11], s[14:15], s24, v12, 0
	v_mov_b32_e32 v12, v11
	v_mad_u64_u32 v[12:13], s[14:15], s24, v13, v[12:13]
	v_add_u32_e32 v4, s54, v3
	v_mov_b32_e32 v3, v12
	s_mov_b64 s[36:37], 0
.LBB13_83:                              ;   Parent Loop BB13_74 Depth=1
                                        ; =>  This Inner Loop Header: Depth=2
	v_mov_b32_e32 v12, s27
	v_add_co_u32_e64 v10, s[14:15], s26, v10
	v_add_u32_e32 v11, v23, v3
	v_add_u32_e32 v23, 0x100, v23
	v_addc_co_u32_e64 v3, s[14:15], v3, v12, s[14:15]
	v_lshrrev_b32_e32 v11, s35, v11
	v_cmp_le_i32_e64 s[14:15], s53, v23
	v_mad_u64_u32 v[12:13], s[38:39], s65, v11, v[4:5]
	v_add_u32_e32 v4, 0x400, v4
	s_or_b64 s[36:37], s[14:15], s[36:37]
	ds_write_b32 v12, v5
	s_andn2_b64 exec, exec, s[36:37]
	s_cbranch_execnz .LBB13_83
.LBB13_84:                              ;   in Loop: Header=BB13_74 Depth=1
	s_or_b64 exec, exec, s[16:17]
	s_waitcnt lgkmcnt(0)
	s_barrier
	s_and_saveexec_b64 s[16:17], vcc
	s_cbranch_execz .LBB13_89
; %bb.85:                               ;   in Loop: Header=BB13_74 Depth=1
	s_mov_b64 s[36:37], 0
	v_pk_mov_b32 v[10:11], v[8:9], v[8:9] op_sel:[0,1]
	v_mov_b32_e32 v3, v0
	s_branch .LBB13_87
.LBB13_86:                              ;   in Loop: Header=BB13_87 Depth=2
	s_or_b64 exec, exec, s[38:39]
	v_add_u32_e32 v3, 0x100, v3
	v_cmp_le_i32_e64 s[14:15], s55, v3
	v_mov_b32_e32 v4, s31
	s_or_b64 s[36:37], s[14:15], s[36:37]
	v_add_co_u32_e64 v10, s[14:15], s30, v10
	v_addc_co_u32_e64 v11, s[14:15], v11, v4, s[14:15]
	s_andn2_b64 exec, exec, s[36:37]
	s_cbranch_execz .LBB13_89
.LBB13_87:                              ;   Parent Loop BB13_74 Depth=1
                                        ; =>  This Inner Loop Header: Depth=2
	v_add_u32_e32 v4, v3, v11
	v_lshrrev_b32_e32 v4, s50, v4
	v_add_u32_e32 v12, s69, v4
	v_cmp_gt_i32_e64 s[14:15], s40, v12
	s_and_saveexec_b64 s[38:39], s[14:15]
	s_cbranch_execz .LBB13_86
; %bb.88:                               ;   in Loop: Header=BB13_87 Depth=2
	v_add_u32_e32 v12, s25, v3
	v_ashrrev_i32_e32 v13, 31, v12
	v_lshlrev_b64 v[12:13], 2, v[12:13]
	v_mov_b32_e32 v23, s29
	v_add_co_u32_e64 v12, s[14:15], s28, v12
	v_addc_co_u32_e64 v13, s[14:15], v23, v13, s[14:15]
	global_load_dword v12, v[12:13], off
	v_mul_lo_u32 v13, s66, v4
	v_mul_lo_u32 v4, v4, s52
	v_lshlrev_b32_e32 v4, 2, v4
	v_add3_u32 v13, v3, v13, 1
	s_waitcnt vmcnt(0)
	v_lshlrev_b32_e32 v12, 2, v12
	v_add3_u32 v4, s54, v12, v4
	ds_write_b32 v4, v13
	s_branch .LBB13_86
.LBB13_89:                              ;   in Loop: Header=BB13_74 Depth=1
	s_or_b64 exec, exec, s[16:17]
	s_waitcnt lgkmcnt(0)
	s_barrier
	s_and_saveexec_b64 s[36:37], s[2:3]
	s_cbranch_execz .LBB13_73
; %bb.90:                               ;   in Loop: Header=BB13_74 Depth=1
	s_mov_b64 s[38:39], 0
	v_mov_b32_e32 v3, v21
	v_mov_b32_e32 v4, v14
	s_branch .LBB13_94
.LBB13_91:                              ;   in Loop: Header=BB13_94 Depth=2
	s_or_b64 exec, exec, s[46:47]
.LBB13_92:                              ;   in Loop: Header=BB13_94 Depth=2
	s_or_b64 exec, exec, s[44:45]
	s_waitcnt lgkmcnt(0)
	ds_write_b32 v10, v11
.LBB13_93:                              ;   in Loop: Header=BB13_94 Depth=2
	s_or_b64 exec, exec, s[42:43]
	v_add_u32_e32 v4, 32, v4
	v_cmp_le_i32_e64 s[14:15], s41, v4
	s_or_b64 s[38:39], s[14:15], s[38:39]
	v_add_u32_e32 v3, 0x80, v3
	s_andn2_b64 exec, exec, s[38:39]
	s_cbranch_execz .LBB13_73
.LBB13_94:                              ;   Parent Loop BB13_74 Depth=1
                                        ; =>  This Loop Header: Depth=2
                                        ;       Child Loop BB13_98 Depth 3
	v_lshlrev_b64 v[10:11], 2, v[4:5]
	v_mov_b32_e32 v12, s19
	v_add_co_u32_e64 v10, s[14:15], s18, v10
	v_addc_co_u32_e64 v11, s[14:15], v12, v11, s[14:15]
	global_load_dword v10, v[10:11], off
	s_waitcnt vmcnt(0)
	v_cmp_ne_u32_e64 s[14:15], 0, v10
	s_and_saveexec_b64 s[42:43], s[14:15]
	s_cbranch_execz .LBB13_93
; %bb.95:                               ;   in Loop: Header=BB13_94 Depth=2
	v_lshl_add_u32 v10, v4, 2, 0
	ds_read_b32 v11, v10
	s_and_saveexec_b64 s[44:45], s[6:7]
	s_cbranch_execz .LBB13_92
; %bb.96:                               ;   in Loop: Header=BB13_94 Depth=2
	s_mov_b64 s[46:47], 0
	v_mov_b32_e32 v12, v3
	v_mov_b32_e32 v13, v20
	;; [unrolled: 1-line block ×3, first 2 shown]
	s_branch .LBB13_98
.LBB13_97:                              ;   in Loop: Header=BB13_98 Depth=3
	s_or_b64 exec, exec, s[16:17]
	ds_bpermute_b32 v24, v17, v24
	v_add_u32_e32 v23, 8, v23
	v_cmp_le_i32_e64 s[14:15], s33, v23
	v_add_u32_e32 v13, s49, v13
	s_or_b64 s[46:47], s[14:15], s[46:47]
	s_waitcnt lgkmcnt(0)
	v_add_u32_e32 v11, v24, v11
	v_add_u32_e32 v12, s67, v12
	s_andn2_b64 exec, exec, s[46:47]
	s_cbranch_execz .LBB13_91
.LBB13_98:                              ;   Parent Loop BB13_74 Depth=1
                                        ;     Parent Loop BB13_94 Depth=2
                                        ; =>    This Inner Loop Header: Depth=3
	ds_read_b32 v25, v12
	s_waitcnt lgkmcnt(0)
	v_cmp_ne_u32_e64 s[14:15], 0, v25
	v_cndmask_b32_e64 v24, 0, 1, s[14:15]
	s_nop 1
	v_mov_b32_dpp v24, v24 row_shr:1 row_mask:0xf bank_mask:0xf bound_ctrl:1
	v_addc_co_u32_e64 v26, s[16:17], 0, v24, s[14:15]
	s_nop 1
	v_mov_b32_dpp v26, v26 row_shr:2 row_mask:0xf bank_mask:0xf bound_ctrl:1
	v_addc_co_u32_e64 v24, s[16:17], v26, v24, s[14:15]
	s_nop 1
	v_add_u32_dpp v24, v24, v24 row_shr:4 row_mask:0xf bank_mask:0xf bound_ctrl:1
	s_nop 1
	v_add_u32_dpp v24, v24, v24 row_shr:8 row_mask:0xf bank_mask:0xf bound_ctrl:1
	s_nop 1
	v_mov_b32_dpp v26, v24 row_newbcast:7 row_mask:0xf bank_mask:0xf bound_ctrl:1
	v_cndmask_b32_e64 v26, v26, 0, s[8:9]
	v_sub_u32_e32 v24, v24, v26
	s_and_saveexec_b64 s[16:17], s[14:15]
	s_cbranch_execz .LBB13_97
; %bb.99:                               ;   in Loop: Header=BB13_98 Depth=3
	v_add_u32_e32 v26, v13, v25
	v_ashrrev_i32_e32 v27, 31, v26
	v_lshlrev_b64 v[26:27], 2, v[26:27]
	v_mov_b32_e32 v28, s62
	v_add_co_u32_e64 v26, s[14:15], s61, v26
	v_addc_co_u32_e64 v27, s[14:15], v28, v27, s[14:15]
	global_load_dword v30, v[26:27], off
	v_add_u32_e32 v26, s69, v23
	v_perm_b32 v25, v25, v26, s68
	v_add_u32_e32 v26, v24, v11
	v_ashrrev_i32_e32 v27, 31, v26
	v_lshlrev_b64 v[26:27], 2, v[26:27]
	v_mov_b32_e32 v29, s60
	v_add_co_u32_e64 v28, s[14:15], s59, v26
	v_add_u32_e32 v25, 0xff000000, v25
	v_addc_co_u32_e64 v29, s[14:15], v29, v27, s[14:15]
	global_store_dword v[28:29], v25, off
	v_mov_b32_e32 v25, s64
	v_add_co_u32_e64 v26, s[14:15], s63, v26
	v_addc_co_u32_e64 v27, s[14:15], v25, v27, s[14:15]
	s_waitcnt vmcnt(1)
	global_store_dword v[26:27], v30, off
	s_branch .LBB13_97
.LBB13_100:
	s_and_saveexec_b64 s[0:1], s[4:5]
	s_cbranch_execz .LBB13_111
; %bb.101:
	s_and_b32 s0, s40, 0xffffff
	s_lshl_b32 s1, s48, 24
	s_or_b32 s4, s1, s0
	s_mov_b32 s5, s4
	s_add_i32 s56, s56, 4
	s_mov_b64 s[2:3], 0
	s_mov_b32 s8, 0
	v_mov_b32_e32 v1, 0
	s_branch .LBB13_103
.LBB13_102:                             ;   in Loop: Header=BB13_103 Depth=1
	s_or_b64 exec, exec, s[12:13]
	v_add_u32_e32 v0, 0x100, v0
	v_cmp_le_i32_e32 vcc, s41, v0
	s_or_b64 s[2:3], vcc, s[2:3]
	s_andn2_b64 exec, exec, s[2:3]
	s_cbranch_execz .LBB13_111
.LBB13_103:                             ; =>This Loop Header: Depth=1
                                        ;     Child Loop BB13_106 Depth 2
                                        ;     Child Loop BB13_110 Depth 2
	v_lshlrev_b32_e32 v2, 2, v0
	v_add_u32_e32 v3, 0, v2
	v_add_u32_e32 v4, s56, v2
	ds_read_b32 v2, v3
	ds_read_b32 v8, v4
	s_waitcnt lgkmcnt(0)
	v_cmp_gt_i32_e32 vcc, v8, v2
	s_and_saveexec_b64 s[12:13], vcc
	s_cbranch_execz .LBB13_102
; %bb.104:                              ;   in Loop: Header=BB13_103 Depth=1
	v_sub_u32_e32 v3, v8, v2
	v_cmp_lt_u32_e32 vcc, 15, v3
	s_mov_b64 s[6:7], -1
	s_and_saveexec_b64 s[0:1], vcc
	s_cbranch_execz .LBB13_108
; %bb.105:                              ;   in Loop: Header=BB13_103 Depth=1
	v_and_b32_e32 v6, -16, v3
	s_mov_b64 s[14:15], 0
	v_mov_b32_e32 v4, v2
	v_mov_b32_e32 v7, v6
.LBB13_106:                             ;   Parent Loop BB13_103 Depth=1
                                        ; =>  This Inner Loop Header: Depth=2
	v_ashrrev_i32_e32 v5, 31, v4
	v_lshlrev_b64 v[14:15], 2, v[4:5]
	v_mov_b32_e32 v5, s21
	v_add_co_u32_e32 v16, vcc, s20, v14
	v_addc_co_u32_e32 v17, vcc, v5, v15, vcc
	s_mov_b32 s6, s4
	s_mov_b32 s7, s5
	v_pk_mov_b32 v[12:13], s[6:7], s[6:7] op_sel:[0,1]
	v_mov_b32_e32 v5, s23
	v_add_co_u32_e32 v14, vcc, s22, v14
	v_pk_mov_b32 v[10:11], s[4:5], s[4:5] op_sel:[0,1]
	v_addc_co_u32_e32 v15, vcc, v5, v15, vcc
	s_mov_b32 s10, s8
	s_mov_b32 s11, s8
	v_add_u32_e32 v7, -16, v7
	global_store_dwordx4 v[16:17], v[10:13], off
	global_store_dwordx4 v[16:17], v[10:13], off offset:16
	global_store_dwordx4 v[16:17], v[10:13], off offset:32
	;; [unrolled: 1-line block ×3, first 2 shown]
	s_mov_b32 s9, s8
	v_pk_mov_b32 v[12:13], s[10:11], s[10:11] op_sel:[0,1]
	v_cmp_eq_u32_e32 vcc, 0, v7
	v_pk_mov_b32 v[10:11], s[8:9], s[8:9] op_sel:[0,1]
	s_or_b64 s[14:15], vcc, s[14:15]
	v_add_u32_e32 v4, 16, v4
	global_store_dwordx4 v[14:15], v[10:13], off
	global_store_dwordx4 v[14:15], v[10:13], off offset:16
	global_store_dwordx4 v[14:15], v[10:13], off offset:32
	;; [unrolled: 1-line block ×3, first 2 shown]
	s_andn2_b64 exec, exec, s[14:15]
	s_cbranch_execnz .LBB13_106
; %bb.107:                              ;   in Loop: Header=BB13_103 Depth=1
	s_or_b64 exec, exec, s[14:15]
	v_cmp_ne_u32_e32 vcc, v3, v6
	v_add_u32_e32 v2, v2, v6
	s_orn2_b64 s[6:7], vcc, exec
.LBB13_108:                             ;   in Loop: Header=BB13_103 Depth=1
	s_or_b64 exec, exec, s[0:1]
	s_and_b64 exec, exec, s[6:7]
	s_cbranch_execz .LBB13_102
; %bb.109:                              ;   in Loop: Header=BB13_103 Depth=1
	v_ashrrev_i32_e32 v3, 31, v2
	v_lshlrev_b64 v[6:7], 2, v[2:3]
	v_mov_b32_e32 v3, s21
	v_add_co_u32_e32 v4, vcc, s20, v6
	v_addc_co_u32_e32 v5, vcc, v3, v7, vcc
	v_mov_b32_e32 v3, s23
	v_add_co_u32_e32 v6, vcc, s22, v6
	v_addc_co_u32_e32 v7, vcc, v3, v7, vcc
	s_mov_b64 s[6:7], 0
.LBB13_110:                             ;   Parent Loop BB13_103 Depth=1
                                        ; =>  This Inner Loop Header: Depth=2
	global_store_dword v[6:7], v1, off
	v_add_co_u32_e32 v6, vcc, 4, v6
	v_mov_b32_e32 v3, s4
	v_add_u32_e32 v2, 1, v2
	v_addc_co_u32_e32 v7, vcc, 0, v7, vcc
	global_store_dword v[4:5], v3, off
	v_cmp_ge_i32_e32 vcc, v2, v8
	v_add_co_u32_e64 v4, s[0:1], 4, v4
	s_or_b64 s[6:7], vcc, s[6:7]
	v_addc_co_u32_e64 v5, vcc, 0, v5, s[0:1]
	s_andn2_b64 exec, exec, s[6:7]
	s_cbranch_execnz .LBB13_110
	s_branch .LBB13_102
.LBB13_111:
	s_endpgm
	.section	.rodata,"a",@progbits
	.p2align	6, 0x0
	.amdhsa_kernel _ZN5aiter22opus_moe_sorting_entryINS_16MoeSortingKernelINS_19MoeSortingProblemExIifLi8ELb0ELb1ELb0ELb1ELi0EEEEENS4_5KargsEEEvT0_
		.amdhsa_group_segment_fixed_size 0
		.amdhsa_private_segment_fixed_size 0
		.amdhsa_kernarg_size 400
		.amdhsa_user_sgpr_count 6
		.amdhsa_user_sgpr_private_segment_buffer 1
		.amdhsa_user_sgpr_dispatch_ptr 0
		.amdhsa_user_sgpr_queue_ptr 0
		.amdhsa_user_sgpr_kernarg_segment_ptr 1
		.amdhsa_user_sgpr_dispatch_id 0
		.amdhsa_user_sgpr_flat_scratch_init 0
		.amdhsa_user_sgpr_kernarg_preload_length 0
		.amdhsa_user_sgpr_kernarg_preload_offset 0
		.amdhsa_user_sgpr_private_segment_size 0
		.amdhsa_uses_dynamic_stack 0
		.amdhsa_system_sgpr_private_segment_wavefront_offset 0
		.amdhsa_system_sgpr_workgroup_id_x 1
		.amdhsa_system_sgpr_workgroup_id_y 0
		.amdhsa_system_sgpr_workgroup_id_z 0
		.amdhsa_system_sgpr_workgroup_info 0
		.amdhsa_system_vgpr_workitem_id 0
		.amdhsa_next_free_vgpr 31
		.amdhsa_next_free_sgpr 70
		.amdhsa_accum_offset 32
		.amdhsa_reserve_vcc 1
		.amdhsa_reserve_flat_scratch 0
		.amdhsa_float_round_mode_32 0
		.amdhsa_float_round_mode_16_64 0
		.amdhsa_float_denorm_mode_32 3
		.amdhsa_float_denorm_mode_16_64 3
		.amdhsa_dx10_clamp 1
		.amdhsa_ieee_mode 1
		.amdhsa_fp16_overflow 0
		.amdhsa_tg_split 0
		.amdhsa_exception_fp_ieee_invalid_op 0
		.amdhsa_exception_fp_denorm_src 0
		.amdhsa_exception_fp_ieee_div_zero 0
		.amdhsa_exception_fp_ieee_overflow 0
		.amdhsa_exception_fp_ieee_underflow 0
		.amdhsa_exception_fp_ieee_inexact 0
		.amdhsa_exception_int_div_zero 0
	.end_amdhsa_kernel
	.section	.text._ZN5aiter22opus_moe_sorting_entryINS_16MoeSortingKernelINS_19MoeSortingProblemExIifLi8ELb0ELb1ELb0ELb1ELi0EEEEENS4_5KargsEEEvT0_,"axG",@progbits,_ZN5aiter22opus_moe_sorting_entryINS_16MoeSortingKernelINS_19MoeSortingProblemExIifLi8ELb0ELb1ELb0ELb1ELi0EEEEENS4_5KargsEEEvT0_,comdat
.Lfunc_end13:
	.size	_ZN5aiter22opus_moe_sorting_entryINS_16MoeSortingKernelINS_19MoeSortingProblemExIifLi8ELb0ELb1ELb0ELb1ELi0EEEEENS4_5KargsEEEvT0_, .Lfunc_end13-_ZN5aiter22opus_moe_sorting_entryINS_16MoeSortingKernelINS_19MoeSortingProblemExIifLi8ELb0ELb1ELb0ELb1ELi0EEEEENS4_5KargsEEEvT0_
                                        ; -- End function
	.section	.AMDGPU.csdata,"",@progbits
; Kernel info:
; codeLenInByte = 5244
; NumSgprs: 74
; NumVgprs: 31
; NumAgprs: 0
; TotalNumVgprs: 31
; ScratchSize: 0
; MemoryBound: 0
; FloatMode: 240
; IeeeMode: 1
; LDSByteSize: 0 bytes/workgroup (compile time only)
; SGPRBlocks: 9
; VGPRBlocks: 3
; NumSGPRsForWavesPerEU: 74
; NumVGPRsForWavesPerEU: 31
; AccumOffset: 32
; Occupancy: 8
; WaveLimiterHint : 1
; COMPUTE_PGM_RSRC2:SCRATCH_EN: 0
; COMPUTE_PGM_RSRC2:USER_SGPR: 6
; COMPUTE_PGM_RSRC2:TRAP_HANDLER: 0
; COMPUTE_PGM_RSRC2:TGID_X_EN: 1
; COMPUTE_PGM_RSRC2:TGID_Y_EN: 0
; COMPUTE_PGM_RSRC2:TGID_Z_EN: 0
; COMPUTE_PGM_RSRC2:TIDIG_COMP_CNT: 0
; COMPUTE_PGM_RSRC3_GFX90A:ACCUM_OFFSET: 7
; COMPUTE_PGM_RSRC3_GFX90A:TG_SPLIT: 0
	.section	.text._ZN5aiter22opus_moe_sorting_entryINS_16MoeSortingKernelINS_19MoeSortingProblemExIifLi4ELb0ELb1ELb0ELb1ELi0EEEEENS4_5KargsEEEvT0_,"axG",@progbits,_ZN5aiter22opus_moe_sorting_entryINS_16MoeSortingKernelINS_19MoeSortingProblemExIifLi4ELb0ELb1ELb0ELb1ELi0EEEEENS4_5KargsEEEvT0_,comdat
	.protected	_ZN5aiter22opus_moe_sorting_entryINS_16MoeSortingKernelINS_19MoeSortingProblemExIifLi4ELb0ELb1ELb0ELb1ELi0EEEEENS4_5KargsEEEvT0_ ; -- Begin function _ZN5aiter22opus_moe_sorting_entryINS_16MoeSortingKernelINS_19MoeSortingProblemExIifLi4ELb0ELb1ELb0ELb1ELi0EEEEENS4_5KargsEEEvT0_
	.globl	_ZN5aiter22opus_moe_sorting_entryINS_16MoeSortingKernelINS_19MoeSortingProblemExIifLi4ELb0ELb1ELb0ELb1ELi0EEEEENS4_5KargsEEEvT0_
	.p2align	8
	.type	_ZN5aiter22opus_moe_sorting_entryINS_16MoeSortingKernelINS_19MoeSortingProblemExIifLi4ELb0ELb1ELb0ELb1ELi0EEEEENS4_5KargsEEEvT0_,@function
_ZN5aiter22opus_moe_sorting_entryINS_16MoeSortingKernelINS_19MoeSortingProblemExIifLi4ELb0ELb1ELb0ELb1ELi0EEEEENS4_5KargsEEEvT0_: ; @_ZN5aiter22opus_moe_sorting_entryINS_16MoeSortingKernelINS_19MoeSortingProblemExIifLi4ELb0ELb1ELb0ELb1ELi0EEEEENS4_5KargsEEEvT0_
; %bb.0:
	s_load_dwordx8 s[20:27], s[4:5], 0x20
	s_load_dwordx8 s[36:43], s[4:5], 0x40
	s_cmp_eq_u32 s6, 0
	s_cbranch_scc1 .LBB14_7
; %bb.1:
	s_waitcnt lgkmcnt(0)
	s_cmp_eq_u64 s[36:37], 0
	s_mov_b64 s[2:3], 0
	s_cbranch_scc1 .LBB14_6
; %bb.2:
	s_mul_i32 s1, s42, s40
	s_ashr_i32 s7, s43, 31
	s_mul_hi_i32 s0, s42, s40
	s_mul_i32 s7, s1, s7
	s_mul_hi_u32 s8, s1, s43
	s_add_i32 s7, s8, s7
	s_mul_i32 s0, s0, s43
	s_add_i32 s8, s7, s0
	s_ashr_i32 s0, s8, 31
	s_mul_i32 s1, s1, s43
	s_lshr_b32 s0, s0, 28
	s_add_u32 s0, s1, s0
	s_addc_u32 s1, s8, 0
	v_lshl_add_u32 v1, s6, 8, v0
	s_ashr_i64 s[8:9], s[0:1], 4
	v_add_u32_e32 v2, 0xffffff00, v1
	v_mov_b32_e32 v3, 0
	s_mov_b32 s7, 0
	v_cmp_gt_i64_e32 vcc, s[8:9], v[2:3]
	s_and_saveexec_b64 s[10:11], vcc
	s_cbranch_execz .LBB14_5
; %bb.3:
	s_load_dword s0, s[4:5], 0x90
	v_lshlrev_b64 v[4:5], 4, v[2:3]
	v_mov_b32_e32 v1, s37
	v_add_co_u32_e32 v8, vcc, s36, v4
	s_waitcnt lgkmcnt(0)
	s_lshl_b32 s0, s0, 8
	s_add_i32 s6, s0, 0xffffff00
	s_lshl_b64 s[12:13], s[6:7], 4
	v_pk_mov_b32 v[6:7], v[2:3], v[2:3] op_sel:[0,1]
	v_addc_co_u32_e32 v9, vcc, v1, v5, vcc
	s_mov_b64 s[14:15], 0
	v_mov_b32_e32 v2, v3
	v_mov_b32_e32 v4, v3
	;; [unrolled: 1-line block ×5, first 2 shown]
.LBB14_4:                               ; =>This Inner Loop Header: Depth=1
	v_add_co_u32_e32 v6, vcc, s6, v6
	v_addc_co_u32_e32 v7, vcc, v7, v1, vcc
	global_store_dwordx4 v[8:9], v[2:5], off
	v_add_co_u32_e32 v8, vcc, s12, v8
	v_cmp_le_i64_e64 s[0:1], s[8:9], v[6:7]
	s_or_b64 s[14:15], s[0:1], s[14:15]
	v_addc_co_u32_e32 v9, vcc, v9, v10, vcc
	s_andn2_b64 exec, exec, s[14:15]
	s_cbranch_execnz .LBB14_4
.LBB14_5:
	s_or_b64 exec, exec, s[10:11]
.LBB14_6:
	s_andn2_b64 vcc, exec, s[2:3]
	s_cbranch_vccz .LBB14_8
	s_branch .LBB14_111
.LBB14_7:
.LBB14_8:
	s_load_dwordx8 s[44:51], s[4:5], 0x64
	s_load_dwordx4 s[28:31], s[4:5], 0x0
	s_load_dwordx2 s[18:19], s[4:5], 0x10
	s_load_dwordx2 s[34:35], s[4:5], 0x84
	v_lshrrev_b32_e32 v1, 6, v0
	s_waitcnt lgkmcnt(0)
	s_add_i32 s33, s44, -2
	s_mul_i32 s53, s33, s41
	v_readfirstlane_b32 s16, v1
	s_add_i32 s52, s41, 1
	v_cmp_gt_i32_e64 s[0:1], s53, v0
	v_xad_u32 v8, v0, -1, s53
	s_and_saveexec_b64 s[2:3], s[0:1]
	s_cbranch_execz .LBB14_18
; %bb.9:
	s_movk_i32 s6, 0xff
	s_mov_b32 s5, 0
	s_mov_b32 s4, s34
	s_sub_i32 s10, s52, s51
	v_cmp_lt_u32_e32 vcc, s6, v8
	s_mov_b64 s[8:9], 0
                                        ; implicit-def: $vgpr1
                                        ; implicit-def: $sgpr11
	s_and_saveexec_b64 s[6:7], vcc
	s_xor_b64 s[6:7], exec, s[6:7]
	s_cbranch_execnz .LBB14_12
; %bb.10:
	s_or_saveexec_b64 s[6:7], s[6:7]
	v_mov_b32_e32 v2, s11
	s_xor_b64 exec, exec, s[6:7]
	s_cbranch_execnz .LBB14_15
.LBB14_11:
	s_or_b64 exec, exec, s[6:7]
	s_and_b64 exec, exec, s[8:9]
	s_cbranch_execnz .LBB14_16
	s_branch .LBB14_18
.LBB14_12:
	v_lshrrev_b32_e32 v1, 8, v8
	v_add_u32_e32 v4, 1, v1
	s_lshl_b32 s11, s41, 3
	v_and_b32_e32 v5, 0x1fffffe, v4
	v_add_u32_e32 v1, 0x100, v0
	s_add_i32 s8, s11, 0
	s_mov_b32 s12, s4
	s_mov_b32 s13, s35
	;; [unrolled: 1-line block ×4, first 2 shown]
	v_lshl_add_u32 v6, v0, 2, s8
	s_mov_b64 s[8:9], 0
	v_mov_b32_e32 v7, 0
	v_mov_b32_e32 v9, v5
	v_pk_mov_b32 v[2:3], v[0:1], v[0:1] op_sel:[0,1]
.LBB14_13:                              ; =>This Inner Loop Header: Depth=1
	v_mul_hi_u32 v1, s4, v2
	v_mul_hi_u32 v10, s12, v3
	v_add_u32_e32 v10, v3, v10
	v_add_u32_e32 v1, v2, v1
	v_add_u32_e32 v9, -2, v9
	v_lshrrev_b32_e32 v1, s13, v1
	v_lshrrev_b32_e32 v10, s14, v10
	v_cmp_eq_u32_e32 vcc, 0, v9
	v_mul_lo_u32 v10, v10, s15
	v_mul_lo_u32 v1, v1, s10
	v_add_u32_e32 v3, 0x200, v3
	v_add_u32_e32 v2, 0x200, v2
	s_or_b64 s[8:9], vcc, s[8:9]
	v_lshl_add_u32 v1, v1, 2, v6
	v_lshl_add_u32 v10, v10, 2, v6
	v_add_u32_e32 v6, 0x800, v6
	ds_write_b32 v1, v7 offset:8
	ds_write_b32 v10, v7 offset:1032
	s_andn2_b64 exec, exec, s[8:9]
	s_cbranch_execnz .LBB14_13
; %bb.14:
	s_or_b64 exec, exec, s[8:9]
	v_cmp_ne_u32_e32 vcc, v4, v5
	v_lshl_add_u32 v1, v5, 8, v0
	s_and_b64 s[8:9], vcc, exec
	s_or_saveexec_b64 s[6:7], s[6:7]
	v_mov_b32_e32 v2, s11
	s_xor_b64 exec, exec, s[6:7]
	s_cbranch_execz .LBB14_11
.LBB14_15:
	s_lshl_b32 s11, s41, 3
	v_mov_b32_e32 v2, s11
	s_or_b64 s[8:9], s[8:9], exec
	v_mov_b32_e32 v1, v0
	s_or_b64 exec, exec, s[6:7]
	s_and_b64 exec, exec, s[8:9]
	s_cbranch_execz .LBB14_18
.LBB14_16:
	v_lshl_add_u32 v2, v1, 2, v2
	v_mad_u64_u32 v[4:5], s[6:7], v1, s4, 0
	s_lshl_b64 s[4:5], s[4:5], 8
	s_lshl_b32 s8, s10, 2
	v_add3_u32 v2, v2, 0, 8
	s_mov_b64 s[6:7], 0
	v_mov_b32_e32 v3, 0
	v_mov_b32_e32 v6, s5
.LBB14_17:                              ; =>This Inner Loop Header: Depth=1
	v_add_co_u32_e32 v4, vcc, s4, v4
	v_add_u32_e32 v7, v1, v5
	v_add_u32_e32 v1, 0x100, v1
	v_addc_co_u32_e32 v5, vcc, v5, v6, vcc
	v_lshrrev_b32_e32 v7, s35, v7
	v_cmp_le_i32_e32 vcc, s53, v1
	v_mad_u64_u32 v[10:11], s[10:11], s8, v7, v[2:3]
	v_add_u32_e32 v2, 0x400, v2
	s_or_b64 s[6:7], vcc, s[6:7]
	ds_write_b32 v10, v3
	s_andn2_b64 exec, exec, s[6:7]
	s_cbranch_execnz .LBB14_17
.LBB14_18:
	s_or_b64 exec, exec, s[2:3]
	s_lshl_b32 s2, s52, 3
	s_add_i32 s54, s2, 0
	s_cmp_gt_i32 s40, 0
	s_mul_i32 s55, s48, s33
	s_mov_b32 s5, 0
	s_cselect_b64 s[12:13], -1, 0
	s_cmp_lt_i32 s40, 1
	v_cmp_gt_i32_e32 vcc, s55, v0
	s_waitcnt lgkmcnt(0)
	s_barrier
	s_cbranch_scc1 .LBB14_26
; %bb.19:
	s_mov_b32 s4, s49
	v_mad_u64_u32 v[2:3], s[2:3], v0, s49, 0
	s_lshl_b64 s[6:7], s[4:5], 8
	v_mov_b32_e32 v5, 0
	s_mov_b32 s4, 0
	s_branch .LBB14_21
.LBB14_20:                              ;   in Loop: Header=BB14_21 Depth=1
	s_or_b64 exec, exec, s[8:9]
	s_add_i32 s4, s4, s33
	s_add_i32 s5, s5, s55
	s_cmp_ge_i32 s4, s40
	s_barrier
	s_cbranch_scc1 .LBB14_26
.LBB14_21:                              ; =>This Loop Header: Depth=1
                                        ;     Child Loop BB14_24 Depth 2
	s_and_saveexec_b64 s[8:9], vcc
	s_cbranch_execz .LBB14_20
; %bb.22:                               ;   in Loop: Header=BB14_21 Depth=1
	s_mov_b64 s[10:11], 0
	v_pk_mov_b32 v[6:7], v[2:3], v[2:3] op_sel:[0,1]
	v_mov_b32_e32 v1, v0
	s_branch .LBB14_24
.LBB14_23:                              ;   in Loop: Header=BB14_24 Depth=2
	s_or_b64 exec, exec, s[14:15]
	v_add_u32_e32 v1, 0x100, v1
	v_cmp_le_i32_e64 s[2:3], s55, v1
	v_mov_b32_e32 v4, s7
	s_or_b64 s[10:11], s[2:3], s[10:11]
	v_add_co_u32_e64 v6, s[2:3], s6, v6
	v_addc_co_u32_e64 v7, s[2:3], v7, v4, s[2:3]
	s_waitcnt lgkmcnt(0)
	s_andn2_b64 exec, exec, s[10:11]
	s_cbranch_execz .LBB14_20
.LBB14_24:                              ;   Parent Loop BB14_21 Depth=1
                                        ; =>  This Inner Loop Header: Depth=2
	v_add_u32_e32 v4, v1, v7
	v_lshrrev_b32_e32 v9, s50, v4
	v_add_u32_e32 v4, s4, v9
	v_cmp_gt_i32_e64 s[2:3], s40, v4
	s_and_saveexec_b64 s[14:15], s[2:3]
	s_cbranch_execz .LBB14_23
; %bb.25:                               ;   in Loop: Header=BB14_24 Depth=2
	v_add_u32_e32 v4, s5, v1
	v_lshlrev_b64 v[10:11], 2, v[4:5]
	v_mov_b32_e32 v4, s29
	v_add_co_u32_e64 v10, s[2:3], s28, v10
	v_addc_co_u32_e64 v11, s[2:3], v4, v11, s[2:3]
	global_load_dword v4, v[10:11], off
	v_mul_lo_u32 v9, v9, s52
	v_lshlrev_b32_e32 v9, 2, v9
	s_waitcnt vmcnt(0)
	v_lshlrev_b32_e32 v4, 2, v4
	v_add3_u32 v4, s54, v4, v9
	ds_read_b32 v9, v4
	s_waitcnt lgkmcnt(0)
	v_add_u32_e32 v9, 1, v9
	ds_write_b32 v4, v9
	s_branch .LBB14_23
.LBB14_26:
	v_cmp_eq_u32_e32 vcc, 0, v0
	s_and_saveexec_b64 s[2:3], vcc
	s_cbranch_execz .LBB14_28
; %bb.27:
	v_mov_b32_e32 v1, 0
	ds_write_b32 v1, v1
.LBB14_28:
	s_or_b64 exec, exec, s[2:3]
	v_mbcnt_lo_u32_b32 v1, -1, 0
	v_and_b32_e32 v15, 7, v0
	v_mbcnt_hi_u32_b32 v9, -1, v1
	v_lshrrev_b32_e32 v14, 3, v0
	v_mul_lo_u32 v1, s52, v15
	v_cmp_gt_i32_e64 s[2:3], s41, v14
	v_lshlrev_b32_e32 v10, 2, v14
	v_lshlrev_b32_e32 v11, 2, v1
	s_and_saveexec_b64 s[8:9], s[2:3]
	s_cbranch_execz .LBB14_36
; %bb.29:
	s_cmp_gt_i32 s44, 2
	s_mul_i32 s10, s41, 0x68
	s_cselect_b64 s[6:7], -1, 0
	s_add_i32 s10, s10, 0
	v_add_u32_e32 v4, s10, v11
	s_mul_i32 s10, s41, 0x48
	s_add_i32 s10, s10, 0
	v_add_u32_e32 v5, s10, v11
	s_mul_i32 s10, s41, 40
	s_add_i32 s10, s10, 0
	v_add3_u32 v6, s10, v11, 40
	s_lshl_b32 s10, s41, 3
	v_lshlrev_b32_e32 v3, 2, v9
	s_lshl_b32 s17, s41, 7
	s_add_i32 s10, s10, 0
	v_cndmask_b32_e64 v12, 0, 1, s[6:7]
	v_xor_b32_e32 v1, 4, v3
	v_xor_b32_e32 v2, 8, v3
	;; [unrolled: 1-line block ×3, first 2 shown]
	v_cmp_eq_u32_e64 s[4:5], 0, v15
	v_add_u32_e32 v4, 0x68, v4
	s_addk_i32 s17, 0x80
	v_add_u32_e32 v5, 0x48, v5
	v_add3_u32 v7, s10, v11, 8
	s_mov_b64 s[10:11], 0
	v_cmp_ne_u32_e64 s[6:7], 1, v12
	v_mov_b32_e32 v12, v14
	s_branch .LBB14_31
.LBB14_30:                              ;   in Loop: Header=BB14_31 Depth=1
	s_or_b64 exec, exec, s[14:15]
	v_add_u32_e32 v12, 32, v12
	v_cmp_le_i32_e32 vcc, s41, v12
	v_add_u32_e32 v4, 0x80, v4
	v_add_u32_e32 v5, 0x80, v5
	;; [unrolled: 1-line block ×3, first 2 shown]
	s_or_b64 s[10:11], vcc, s[10:11]
	v_add_u32_e32 v7, 0x80, v7
	s_andn2_b64 exec, exec, s[10:11]
	s_cbranch_execz .LBB14_36
.LBB14_31:                              ; =>This Loop Header: Depth=1
                                        ;     Child Loop BB14_33 Depth 2
	s_and_b64 vcc, exec, s[6:7]
	v_mov_b32_e32 v13, 0
	s_cbranch_vccnz .LBB14_34
; %bb.32:                               ;   in Loop: Header=BB14_31 Depth=1
	s_mov_b32 s14, 0
	v_mov_b32_e32 v13, 0
	v_mov_b32_e32 v16, v7
	;; [unrolled: 1-line block ×5, first 2 shown]
.LBB14_33:                              ;   Parent Loop BB14_31 Depth=1
                                        ; =>  This Inner Loop Header: Depth=2
	v_add_u32_e32 v20, v16, v10
	v_add_u32_e32 v21, v17, v10
	;; [unrolled: 1-line block ×4, first 2 shown]
	ds_read_b32 v20, v20
	ds_read_b32 v21, v21
	;; [unrolled: 1-line block ×4, first 2 shown]
	s_add_i32 s14, s14, 32
	s_waitcnt lgkmcnt(3)
	ds_bpermute_b32 v24, v1, v20
	s_waitcnt lgkmcnt(3)
	ds_bpermute_b32 v25, v1, v21
	;; [unrolled: 2-line block ×4, first 2 shown]
	v_add_u32_e32 v19, s17, v19
	s_waitcnt lgkmcnt(3)
	v_add_u32_e32 v20, v24, v20
	s_waitcnt lgkmcnt(2)
	v_add_u32_e32 v21, v25, v21
	ds_bpermute_b32 v24, v2, v20
	s_waitcnt lgkmcnt(2)
	v_add_u32_e32 v22, v26, v22
	ds_bpermute_b32 v25, v2, v21
	;; [unrolled: 3-line block ×3, first 2 shown]
	ds_bpermute_b32 v27, v2, v23
	s_waitcnt lgkmcnt(3)
	v_add_u32_e32 v20, v24, v20
	s_waitcnt lgkmcnt(2)
	v_add_u32_e32 v21, v25, v21
	ds_bpermute_b32 v24, v3, v20
	s_waitcnt lgkmcnt(2)
	v_add_u32_e32 v22, v26, v22
	ds_bpermute_b32 v25, v3, v21
	;; [unrolled: 3-line block ×3, first 2 shown]
	ds_bpermute_b32 v27, v3, v23
	s_waitcnt lgkmcnt(3)
	v_add3_u32 v13, v20, v13, v24
	s_waitcnt lgkmcnt(2)
	v_add3_u32 v13, v13, v21, v25
	v_add_u32_e32 v18, s17, v18
	s_waitcnt lgkmcnt(1)
	v_add3_u32 v13, v13, v22, v26
	v_add_u32_e32 v17, s17, v17
	v_add_u32_e32 v16, s17, v16
	s_cmp_lt_i32 s14, s33
	s_waitcnt lgkmcnt(0)
	v_add3_u32 v13, v13, v23, v27
	s_cbranch_scc1 .LBB14_33
.LBB14_34:                              ;   in Loop: Header=BB14_31 Depth=1
	s_and_saveexec_b64 s[14:15], s[4:5]
	s_cbranch_execz .LBB14_30
; %bb.35:                               ;   in Loop: Header=BB14_31 Depth=1
	v_lshl_add_u32 v16, v12, 2, 0
	ds_write_b32 v16, v13 offset:4
	s_branch .LBB14_30
.LBB14_36:
	s_or_b64 exec, exec, s[8:9]
	s_lshl_b32 s17, s41, 2
	s_add_i32 s36, s17, 0
	v_mov_b32_e32 v1, 0
	v_mov_b32_e32 v2, s36
	v_cmp_gt_i32_e64 s[4:5], s41, v0
	ds_write_b32 v2, v1 offset:4
	s_and_saveexec_b64 s[6:7], s[4:5]
	s_cbranch_execz .LBB14_46
; %bb.37:
	v_xad_u32 v1, v0, -1, s41
	s_movk_i32 s8, 0xff
	v_cmp_lt_u32_e32 vcc, s8, v1
	s_mov_b64 s[10:11], 0
                                        ; implicit-def: $vgpr2
	s_and_saveexec_b64 s[8:9], vcc
	s_xor_b64 s[8:9], exec, s[8:9]
	s_cbranch_execnz .LBB14_40
; %bb.38:
	s_or_saveexec_b64 s[8:9], s[8:9]
	v_mov_b32_e32 v1, s17
	s_xor_b64 exec, exec, s[8:9]
	s_cbranch_execnz .LBB14_43
.LBB14_39:
	s_or_b64 exec, exec, s[8:9]
	s_and_b64 exec, exec, s[10:11]
	s_cbranch_execnz .LBB14_44
	s_branch .LBB14_46
.LBB14_40:
	v_lshrrev_b32_e32 v1, 8, v1
	v_add_u32_e32 v6, 1, v1
	v_and_b32_e32 v7, 0x1fffffe, v6
	v_add_u32_e32 v1, 0x100, v0
	v_lshlrev_b32_e32 v2, 2, v0
	v_add3_u32 v12, s36, v2, 8
	v_mov_b32_e32 v13, s19
	v_mov_b32_e32 v3, 0
	;; [unrolled: 1-line block ×3, first 2 shown]
	v_pk_mov_b32 v[4:5], v[0:1], v[0:1] op_sel:[0,1]
.LBB14_41:                              ; =>This Inner Loop Header: Depth=1
	v_mov_b32_e32 v2, v4
	v_lshlrev_b64 v[18:19], 2, v[2:3]
	v_mov_b32_e32 v2, v5
	v_add_co_u32_e32 v18, vcc, s18, v18
	v_addc_co_u32_e32 v19, vcc, v13, v19, vcc
	v_lshlrev_b64 v[20:21], 2, v[2:3]
	v_add_co_u32_e32 v20, vcc, s18, v20
	v_addc_co_u32_e32 v21, vcc, v13, v21, vcc
	global_load_dword v1, v[18:19], off
	global_load_dword v2, v[20:21], off
	v_add_u32_e32 v16, -2, v16
	v_cmp_eq_u32_e32 vcc, 0, v16
	v_add_u32_e32 v4, 0x200, v4
	v_add_u32_e32 v5, 0x200, v5
	s_or_b64 s[10:11], vcc, s[10:11]
	s_waitcnt vmcnt(0)
	ds_write2st64_b32 v12, v1, v2 offset1:4
	v_add_u32_e32 v12, 0x800, v12
	s_andn2_b64 exec, exec, s[10:11]
	s_cbranch_execnz .LBB14_41
; %bb.42:
	s_or_b64 exec, exec, s[10:11]
	v_cmp_ne_u32_e32 vcc, v6, v7
	v_lshl_add_u32 v2, v7, 8, v0
	s_and_b64 s[10:11], vcc, exec
	s_or_saveexec_b64 s[8:9], s[8:9]
	v_mov_b32_e32 v1, s17
	s_xor_b64 exec, exec, s[8:9]
	s_cbranch_execz .LBB14_39
.LBB14_43:
	v_mov_b32_e32 v1, s17
	s_or_b64 s[10:11], s[10:11], exec
	v_mov_b32_e32 v2, v0
	s_or_b64 exec, exec, s[8:9]
	s_and_b64 exec, exec, s[10:11]
	s_cbranch_execz .LBB14_46
.LBB14_44:
	v_mov_b32_e32 v3, 0
	v_lshlrev_b64 v[4:5], 2, v[2:3]
	v_lshl_add_u32 v1, v2, 2, v1
	v_mov_b32_e32 v3, s19
	v_add_co_u32_e32 v4, vcc, s18, v4
	v_add3_u32 v1, v1, 0, 8
	v_addc_co_u32_e32 v5, vcc, v3, v5, vcc
	s_mov_b64 s[8:9], 0
.LBB14_45:                              ; =>This Inner Loop Header: Depth=1
	global_load_dword v3, v[4:5], off
	v_add_co_u32_e32 v4, vcc, 0x400, v4
	v_add_u32_e32 v2, 0x100, v2
	v_addc_co_u32_e32 v5, vcc, 0, v5, vcc
	v_cmp_le_i32_e32 vcc, s41, v2
	s_or_b64 s[8:9], vcc, s[8:9]
	s_waitcnt vmcnt(0)
	ds_write_b32 v1, v3
	v_add_u32_e32 v1, 0x400, v1
	s_andn2_b64 exec, exec, s[8:9]
	s_cbranch_execnz .LBB14_45
.LBB14_46:
	s_or_b64 exec, exec, s[6:7]
	s_add_i32 s56, s36, 4
	s_cmp_lg_u32 s16, 0
	s_waitcnt lgkmcnt(0)
	s_barrier
	s_cbranch_scc1 .LBB14_57
; %bb.47:
	s_mov_b32 s16, 0
	s_cmp_lt_i32 s41, 1
	v_mov_b32_e32 v2, 0
	s_cbranch_scc1 .LBB14_54
; %bb.48:
	v_lshlrev_b32_e32 v2, 2, v9
	v_and_b32_e32 v3, 0xc0, v2
	v_cmp_eq_u32_e32 vcc, 0, v9
	s_add_i32 s37, s45, -1
	v_add_u32_e32 v1, -4, v3
	v_cmp_lt_u32_e64 s[6:7], 15, v9
	v_add_u32_e32 v3, 0xffffffbc, v3
	v_cmp_lt_u32_e64 s[8:9], 31, v9
	v_add_u32_e32 v4, 0, v2
	s_branch .LBB14_50
.LBB14_49:                              ;   in Loop: Header=BB14_50 Depth=1
	s_or_b64 exec, exec, s[14:15]
	s_add_i32 s16, s16, 64
	s_cmp_lt_i32 s16, s41
	v_add_u32_e32 v4, 0x100, v4
	s_waitcnt lgkmcnt(0)
	s_cbranch_scc0 .LBB14_54
.LBB14_50:                              ; =>This Inner Loop Header: Depth=1
	ds_read_b32 v7, v4 offset:4
	v_mov_b32_e32 v2, s16
	v_add_u32_e32 v5, s17, v4
	ds_read_b32 v6, v5 offset:8
	v_cndmask_b32_e32 v2, 0, v2, vcc
	s_waitcnt lgkmcnt(1)
	v_add_u32_e32 v7, s37, v7
	v_lshlrev_b32_e32 v2, 2, v2
	v_mul_hi_u32 v13, v7, s46
	v_add_u32_e32 v12, 0, v2
	v_add_u32_e32 v7, v7, v13
	v_lshrrev_b32_e32 v13, s47, v7
	v_add_u32_e32 v2, s56, v2
	ds_read_b32 v12, v12
	ds_read_b32 v7, v2
	v_mul_lo_u32 v2, v13, s45
	s_waitcnt lgkmcnt(2)
	v_cmp_ne_u32_e64 s[10:11], 0, v6
	v_cndmask_b32_e64 v2, 0, v2, s[10:11]
	s_waitcnt lgkmcnt(1)
	v_add_u32_e32 v2, v2, v12
	v_add_u32_e32 v13, s16, v9
	v_cmp_gt_i32_e64 s[10:11], s41, v13
	v_add_u32_dpp v2, v2, v2 row_shr:1 row_mask:0xf bank_mask:0xf bound_ctrl:1
	s_nop 1
	v_add_u32_dpp v2, v2, v2 row_shr:2 row_mask:0xf bank_mask:0xf bound_ctrl:1
	s_nop 1
	;; [unrolled: 2-line block ×3, first 2 shown]
	v_add_u32_dpp v2, v2, v2 row_shr:8 row_mask:0xf bank_mask:0xf bound_ctrl:1
	ds_bpermute_b32 v12, v1, v2
	s_waitcnt lgkmcnt(0)
	v_cndmask_b32_e64 v12, 0, v12, s[6:7]
	v_add_u32_e32 v2, v2, v12
	ds_bpermute_b32 v12, v3, v2
	s_waitcnt lgkmcnt(0)
	v_cndmask_b32_e64 v12, 0, v12, s[8:9]
	v_add_u32_e32 v2, v2, v12
	s_and_saveexec_b64 s[14:15], s[10:11]
	s_cbranch_execz .LBB14_52
; %bb.51:                               ;   in Loop: Header=BB14_50 Depth=1
	ds_write_b32 v4, v2 offset:4
.LBB14_52:                              ;   in Loop: Header=BB14_50 Depth=1
	s_or_b64 exec, exec, s[14:15]
	v_add_u32_e32 v6, v6, v7
	s_nop 1
	v_add_u32_dpp v6, v6, v6 row_shr:1 row_mask:0xf bank_mask:0xf bound_ctrl:1
	s_nop 1
	v_add_u32_dpp v6, v6, v6 row_shr:2 row_mask:0xf bank_mask:0xf bound_ctrl:1
	;; [unrolled: 2-line block ×4, first 2 shown]
	ds_bpermute_b32 v7, v1, v6
	s_waitcnt lgkmcnt(0)
	v_cndmask_b32_e64 v7, 0, v7, s[6:7]
	v_add_u32_e32 v6, v7, v6
	ds_bpermute_b32 v7, v3, v6
	s_and_saveexec_b64 s[14:15], s[10:11]
	s_cbranch_execz .LBB14_49
; %bb.53:                               ;   in Loop: Header=BB14_50 Depth=1
	s_waitcnt lgkmcnt(0)
	v_cndmask_b32_e64 v7, 0, v7, s[8:9]
	v_add_u32_e32 v6, v7, v6
	ds_write_b32 v5, v6 offset:8
	s_branch .LBB14_49
.LBB14_54:
	v_add_u32_e32 v1, s16, v9
	v_subrev_u32_e32 v1, 63, v1
	v_cmp_eq_u32_e32 vcc, s41, v1
	s_and_saveexec_b64 s[6:7], vcc
	s_cbranch_execz .LBB14_56
; %bb.55:
	v_mov_b32_e32 v1, 0
	v_mov_b32_e32 v3, s40
	global_store_dwordx2 v1, v[2:3], s[26:27]
.LBB14_56:
	s_or_b64 exec, exec, s[6:7]
.LBB14_57:
	s_cmp_eq_u64 s[38:39], 0
	s_barrier
	s_cbranch_scc1 .LBB14_64
; %bb.58:
	s_mul_i32 s14, s48, s40
	v_cmp_gt_i32_e32 vcc, s14, v0
	s_and_saveexec_b64 s[8:9], vcc
	s_cbranch_execz .LBB14_63
; %bb.59:
	v_lshlrev_b32_e32 v1, 2, v0
	v_mov_b32_e32 v3, s29
	v_add_co_u32_e32 v2, vcc, s28, v1
	v_addc_co_u32_e32 v3, vcc, 0, v3, vcc
	v_mov_b32_e32 v5, s39
	v_add_co_u32_e32 v4, vcc, s38, v1
	v_addc_co_u32_e32 v5, vcc, 0, v5, vcc
	s_mov_b64 s[10:11], 0
	v_mov_b32_e32 v1, s19
	v_mov_b32_e32 v12, v0
	s_branch .LBB14_61
.LBB14_60:                              ;   in Loop: Header=BB14_61 Depth=1
	s_or_b64 exec, exec, s[6:7]
	v_add_co_u32_e32 v2, vcc, 0x400, v2
	v_add_u32_e32 v12, 0x100, v12
	v_addc_co_u32_e32 v3, vcc, 0, v3, vcc
	s_waitcnt lgkmcnt(0)
	global_store_dword v[4:5], v7, off
	v_add_co_u32_e32 v4, vcc, 0x400, v4
	v_cmp_le_i32_e64 s[6:7], s14, v12
	s_or_b64 s[10:11], s[6:7], s[10:11]
	v_addc_co_u32_e32 v5, vcc, 0, v5, vcc
	s_andn2_b64 exec, exec, s[10:11]
	s_cbranch_execz .LBB14_63
.LBB14_61:                              ; =>This Inner Loop Header: Depth=1
	global_load_dword v6, v[2:3], off
	s_waitcnt vmcnt(0)
	v_ashrrev_i32_e32 v7, 31, v6
	v_lshlrev_b64 v[16:17], 2, v[6:7]
	v_add_co_u32_e32 v16, vcc, s18, v16
	v_addc_co_u32_e32 v17, vcc, v1, v17, vcc
	global_load_dword v7, v[16:17], off
	s_waitcnt vmcnt(0)
	v_cmp_ne_u32_e32 vcc, 0, v7
	v_mov_b32_e32 v7, -1
	s_and_saveexec_b64 s[6:7], vcc
	s_cbranch_execz .LBB14_60
; %bb.62:                               ;   in Loop: Header=BB14_61 Depth=1
	v_lshl_add_u32 v6, v6, 2, s56
	ds_read_b32 v7, v6
	s_branch .LBB14_60
.LBB14_63:
	s_or_b64 exec, exec, s[8:9]
	s_barrier
.LBB14_64:
	s_and_saveexec_b64 s[8:9], s[4:5]
	s_cbranch_execz .LBB14_71
; %bb.65:
	s_mov_b64 s[10:11], 0
	v_mov_b32_e32 v3, 0
	v_mov_b32_e32 v4, v0
	s_branch .LBB14_67
.LBB14_66:                              ;   in Loop: Header=BB14_67 Depth=1
	s_or_b64 exec, exec, s[14:15]
	v_add_u32_e32 v4, 0x100, v4
	v_cmp_le_i32_e32 vcc, s41, v4
	s_or_b64 s[10:11], vcc, s[10:11]
	s_andn2_b64 exec, exec, s[10:11]
	s_cbranch_execz .LBB14_71
.LBB14_67:                              ; =>This Loop Header: Depth=1
                                        ;     Child Loop BB14_70 Depth 2
	s_waitcnt lgkmcnt(1)
	v_lshlrev_b32_e32 v1, 2, v4
	v_add_u32_e32 v2, 0, v1
	ds_read2_b32 v[6:7], v2 offset1:1
	v_add_u32_e32 v2, s56, v1
	ds_read_b32 v1, v2
	s_waitcnt lgkmcnt(1)
	v_cmp_ne_u32_e32 vcc, v6, v7
	ds_write_b32 v2, v6
	s_and_saveexec_b64 s[14:15], vcc
	s_cbranch_execz .LBB14_66
; %bb.68:                               ;   in Loop: Header=BB14_67 Depth=1
	v_mov_b32_e32 v5, v3
	v_lshlrev_b64 v[12:13], 2, v[4:5]
	v_mov_b32_e32 v2, s19
	v_add_co_u32_e32 v12, vcc, s18, v12
	v_addc_co_u32_e32 v13, vcc, v2, v13, vcc
	global_load_dword v2, v[12:13], off
	v_cmp_lt_i32_e64 s[6:7], v6, v7
	s_waitcnt vmcnt(0)
	v_cmp_ne_u32_e32 vcc, 0, v2
	s_and_b64 s[6:7], s[6:7], vcc
	s_and_b64 exec, exec, s[6:7]
	s_cbranch_execz .LBB14_66
; %bb.69:                               ;   in Loop: Header=BB14_67 Depth=1
	s_mov_b64 s[6:7], 0
.LBB14_70:                              ;   Parent Loop BB14_67 Depth=1
                                        ; =>  This Inner Loop Header: Depth=2
	v_mul_hi_u32 v2, s46, v6
	v_add_u32_e32 v2, v6, v2
	v_add_u32_e32 v6, s45, v6
	v_lshrrev_b32_e32 v2, s47, v2
	v_cmp_ge_i32_e32 vcc, v6, v7
	v_lshlrev_b64 v[12:13], 2, v[2:3]
	v_mov_b32_e32 v5, s25
	s_or_b64 s[6:7], vcc, s[6:7]
	v_add_co_u32_e32 v12, vcc, s24, v12
	v_addc_co_u32_e32 v13, vcc, v5, v13, vcc
	s_waitcnt lgkmcnt(1)
	global_store_dword v[12:13], v1, off
	s_andn2_b64 exec, exec, s[6:7]
	s_cbranch_execnz .LBB14_70
	s_branch .LBB14_66
.LBB14_71:
	s_or_b64 exec, exec, s[8:9]
	s_waitcnt lgkmcnt(1)
	v_mov_b32_e32 v1, s36
	s_waitcnt lgkmcnt(0)
	s_barrier
	ds_read_b32 v1, v1
	s_add_i32 s6, s36, s17
	v_mov_b32_e32 v2, s6
	s_andn2_b64 vcc, exec, s[12:13]
	s_waitcnt lgkmcnt(0)
	ds_write_b32 v2, v1 offset:4
	s_cbranch_vccnz .LBB14_100
; %bb.72:
	s_mov_b32 s24, s34
	s_sub_i32 s34, s52, s51
	s_add_u32 s59, s20, -4
	s_addc_u32 s60, s21, -1
	v_and_b32_e32 v1, 8, v9
	s_add_u32 s61, s30, -4
	v_cmp_eq_u32_e64 s[8:9], 0, v1
	v_lshrrev_b32_e32 v1, 8, v8
	s_addc_u32 s62, s31, -1
	v_add_u32_e32 v3, 1, v1
	s_add_u32 s63, s22, -4
	s_mov_b32 s25, 0
	v_and_b32_e32 v18, 0x1fffffe, v3
	s_addc_u32 s64, s23, -1
	s_lshl_b32 s36, s41, 3
	s_mov_b32 s14, s49
	s_mov_b32 s15, s25
	v_lshlrev_b32_e32 v16, 2, v0
	s_movk_i32 s10, 0xff
	v_lshl_add_u32 v2, v18, 8, v0
	v_cmp_ne_u32_e64 s[12:13], v3, v18
	s_add_i32 s16, s36, 0
	v_mov_b32_e32 v5, 0
	v_mov_b32_e32 v4, v0
	v_add3_u32 v3, v11, s36, v10
	s_lshl_b32 s67, s41, 5
	v_cmp_gt_i32_e32 vcc, s55, v0
	v_cmp_gt_i32_e64 s[6:7], s33, v15
	v_or_b32_e32 v17, 28, v16
	v_cmp_lt_u32_e64 s[10:11], s10, v8
	v_add_u32_e32 v1, 0x100, v0
	s_mov_b32 s51, s24
	s_mov_b32 s57, s35
	;; [unrolled: 1-line block ×3, first 2 shown]
	v_add_u32_e32 v19, s16, v16
	s_lshl_b32 s65, s34, 2
	s_lshl_b64 s[26:27], s[24:25], 8
	s_sub_i32 s66, 0, s48
	v_pk_mov_b32 v[6:7], v[4:5], v[4:5] op_sel:[0,1]
	v_mad_u64_u32 v[8:9], s[16:17], v0, s49, 0
	s_lshl_b64 s[30:31], s[14:15], 8
	v_mul_lo_u32 v20, s48, v15
	s_lshl_b32 s49, s48, 3
	v_add3_u32 v21, v3, 0, 8
	s_add_i32 s67, s67, 32
	v_lshlrev_b32_e32 v22, 2, v2
	s_mov_b32 s68, 0x4020100
	s_mov_b32 s69, s25
	s_branch .LBB14_74
.LBB14_73:                              ;   in Loop: Header=BB14_74 Depth=1
	s_or_b64 exec, exec, s[36:37]
	s_add_i32 s69, s69, s33
	s_add_i32 s25, s25, s55
	s_cmp_ge_i32 s69, s40
	v_add_u32_e32 v20, s55, v20
	s_waitcnt lgkmcnt(0)
	s_barrier
	s_cbranch_scc1 .LBB14_100
.LBB14_74:                              ; =>This Loop Header: Depth=1
                                        ;     Child Loop BB14_77 Depth 2
                                        ;     Child Loop BB14_83 Depth 2
	;; [unrolled: 1-line block ×4, first 2 shown]
                                        ;       Child Loop BB14_98 Depth 3
	s_and_saveexec_b64 s[16:17], s[0:1]
	s_cbranch_execz .LBB14_84
; %bb.75:                               ;   in Loop: Header=BB14_74 Depth=1
	s_mov_b64 s[14:15], -1
	v_mov_b32_e32 v23, v0
	v_mov_b32_e32 v3, v16
	v_pk_mov_b32 v[12:13], v[6:7], v[6:7] op_sel:[0,1]
	s_and_saveexec_b64 s[36:37], s[10:11]
	s_cbranch_execz .LBB14_81
; %bb.76:                               ;   in Loop: Header=BB14_74 Depth=1
	s_mov_b64 s[38:39], 0
	v_mov_b32_e32 v3, v18
	v_mov_b32_e32 v4, v19
	v_pk_mov_b32 v[10:11], v[0:1], v[0:1] op_sel:[0,1]
.LBB14_77:                              ;   Parent Loop BB14_74 Depth=1
                                        ; =>  This Inner Loop Header: Depth=2
	v_mul_hi_u32 v12, s24, v10
	v_mul_hi_u32 v13, s51, v11
	v_add_u32_e32 v13, v11, v13
	v_add_u32_e32 v12, v10, v12
	v_add_u32_e32 v3, -2, v3
	v_lshrrev_b32_e32 v12, s57, v12
	v_lshrrev_b32_e32 v13, s35, v13
	v_cmp_eq_u32_e64 s[14:15], 0, v3
	v_mul_lo_u32 v13, v13, s58
	v_mul_lo_u32 v12, v12, s34
	v_add_u32_e32 v11, 0x200, v11
	v_add_u32_e32 v10, 0x200, v10
	s_or_b64 s[38:39], s[14:15], s[38:39]
	v_lshl_add_u32 v12, v12, 2, v4
	v_lshl_add_u32 v13, v13, 2, v4
	v_add_u32_e32 v4, 0x800, v4
	ds_write_b32 v12, v5 offset:8
	ds_write_b32 v13, v5 offset:1032
	s_andn2_b64 exec, exec, s[38:39]
	s_cbranch_execnz .LBB14_77
; %bb.78:                               ;   in Loop: Header=BB14_74 Depth=1
	s_or_b64 exec, exec, s[38:39]
	s_mov_b64 s[14:15], 0
                                        ; implicit-def: $vgpr12_vgpr13
	s_and_saveexec_b64 s[38:39], s[12:13]
	s_xor_b64 s[38:39], exec, s[38:39]
; %bb.79:                               ;   in Loop: Header=BB14_74 Depth=1
	v_mov_b32_e32 v3, v5
	s_mov_b64 s[14:15], exec
	v_pk_mov_b32 v[12:13], v[2:3], v[2:3] op_sel:[0,1]
; %bb.80:                               ;   in Loop: Header=BB14_74 Depth=1
	s_or_b64 exec, exec, s[38:39]
	s_orn2_b64 s[14:15], s[14:15], exec
	v_mov_b32_e32 v23, v2
	v_mov_b32_e32 v3, v22
.LBB14_81:                              ;   in Loop: Header=BB14_74 Depth=1
	s_or_b64 exec, exec, s[36:37]
	s_and_b64 exec, exec, s[14:15]
	s_cbranch_execz .LBB14_84
; %bb.82:                               ;   in Loop: Header=BB14_74 Depth=1
	v_mad_u64_u32 v[10:11], s[14:15], s24, v12, 0
	v_mov_b32_e32 v12, v11
	v_mad_u64_u32 v[12:13], s[14:15], s24, v13, v[12:13]
	v_add_u32_e32 v4, s54, v3
	v_mov_b32_e32 v3, v12
	s_mov_b64 s[36:37], 0
.LBB14_83:                              ;   Parent Loop BB14_74 Depth=1
                                        ; =>  This Inner Loop Header: Depth=2
	v_mov_b32_e32 v12, s27
	v_add_co_u32_e64 v10, s[14:15], s26, v10
	v_add_u32_e32 v11, v23, v3
	v_add_u32_e32 v23, 0x100, v23
	v_addc_co_u32_e64 v3, s[14:15], v3, v12, s[14:15]
	v_lshrrev_b32_e32 v11, s35, v11
	v_cmp_le_i32_e64 s[14:15], s53, v23
	v_mad_u64_u32 v[12:13], s[38:39], s65, v11, v[4:5]
	v_add_u32_e32 v4, 0x400, v4
	s_or_b64 s[36:37], s[14:15], s[36:37]
	ds_write_b32 v12, v5
	s_andn2_b64 exec, exec, s[36:37]
	s_cbranch_execnz .LBB14_83
.LBB14_84:                              ;   in Loop: Header=BB14_74 Depth=1
	s_or_b64 exec, exec, s[16:17]
	s_waitcnt lgkmcnt(0)
	s_barrier
	s_and_saveexec_b64 s[16:17], vcc
	s_cbranch_execz .LBB14_89
; %bb.85:                               ;   in Loop: Header=BB14_74 Depth=1
	s_mov_b64 s[36:37], 0
	v_pk_mov_b32 v[10:11], v[8:9], v[8:9] op_sel:[0,1]
	v_mov_b32_e32 v3, v0
	s_branch .LBB14_87
.LBB14_86:                              ;   in Loop: Header=BB14_87 Depth=2
	s_or_b64 exec, exec, s[38:39]
	v_add_u32_e32 v3, 0x100, v3
	v_cmp_le_i32_e64 s[14:15], s55, v3
	v_mov_b32_e32 v4, s31
	s_or_b64 s[36:37], s[14:15], s[36:37]
	v_add_co_u32_e64 v10, s[14:15], s30, v10
	v_addc_co_u32_e64 v11, s[14:15], v11, v4, s[14:15]
	s_andn2_b64 exec, exec, s[36:37]
	s_cbranch_execz .LBB14_89
.LBB14_87:                              ;   Parent Loop BB14_74 Depth=1
                                        ; =>  This Inner Loop Header: Depth=2
	v_add_u32_e32 v4, v3, v11
	v_lshrrev_b32_e32 v4, s50, v4
	v_add_u32_e32 v12, s69, v4
	v_cmp_gt_i32_e64 s[14:15], s40, v12
	s_and_saveexec_b64 s[38:39], s[14:15]
	s_cbranch_execz .LBB14_86
; %bb.88:                               ;   in Loop: Header=BB14_87 Depth=2
	v_add_u32_e32 v12, s25, v3
	v_ashrrev_i32_e32 v13, 31, v12
	v_lshlrev_b64 v[12:13], 2, v[12:13]
	v_mov_b32_e32 v23, s29
	v_add_co_u32_e64 v12, s[14:15], s28, v12
	v_addc_co_u32_e64 v13, s[14:15], v23, v13, s[14:15]
	global_load_dword v12, v[12:13], off
	v_mul_lo_u32 v13, s66, v4
	v_mul_lo_u32 v4, v4, s52
	v_lshlrev_b32_e32 v4, 2, v4
	v_add3_u32 v13, v3, v13, 1
	s_waitcnt vmcnt(0)
	v_lshlrev_b32_e32 v12, 2, v12
	v_add3_u32 v4, s54, v12, v4
	ds_write_b32 v4, v13
	s_branch .LBB14_86
.LBB14_89:                              ;   in Loop: Header=BB14_74 Depth=1
	s_or_b64 exec, exec, s[16:17]
	s_waitcnt lgkmcnt(0)
	s_barrier
	s_and_saveexec_b64 s[36:37], s[2:3]
	s_cbranch_execz .LBB14_73
; %bb.90:                               ;   in Loop: Header=BB14_74 Depth=1
	s_mov_b64 s[38:39], 0
	v_mov_b32_e32 v3, v21
	v_mov_b32_e32 v4, v14
	s_branch .LBB14_94
.LBB14_91:                              ;   in Loop: Header=BB14_94 Depth=2
	s_or_b64 exec, exec, s[46:47]
.LBB14_92:                              ;   in Loop: Header=BB14_94 Depth=2
	s_or_b64 exec, exec, s[44:45]
	s_waitcnt lgkmcnt(0)
	ds_write_b32 v10, v11
.LBB14_93:                              ;   in Loop: Header=BB14_94 Depth=2
	s_or_b64 exec, exec, s[42:43]
	v_add_u32_e32 v4, 32, v4
	v_cmp_le_i32_e64 s[14:15], s41, v4
	s_or_b64 s[38:39], s[14:15], s[38:39]
	v_add_u32_e32 v3, 0x80, v3
	s_andn2_b64 exec, exec, s[38:39]
	s_cbranch_execz .LBB14_73
.LBB14_94:                              ;   Parent Loop BB14_74 Depth=1
                                        ; =>  This Loop Header: Depth=2
                                        ;       Child Loop BB14_98 Depth 3
	v_lshlrev_b64 v[10:11], 2, v[4:5]
	v_mov_b32_e32 v12, s19
	v_add_co_u32_e64 v10, s[14:15], s18, v10
	v_addc_co_u32_e64 v11, s[14:15], v12, v11, s[14:15]
	global_load_dword v10, v[10:11], off
	s_waitcnt vmcnt(0)
	v_cmp_ne_u32_e64 s[14:15], 0, v10
	s_and_saveexec_b64 s[42:43], s[14:15]
	s_cbranch_execz .LBB14_93
; %bb.95:                               ;   in Loop: Header=BB14_94 Depth=2
	v_lshl_add_u32 v10, v4, 2, 0
	ds_read_b32 v11, v10
	s_and_saveexec_b64 s[44:45], s[6:7]
	s_cbranch_execz .LBB14_92
; %bb.96:                               ;   in Loop: Header=BB14_94 Depth=2
	s_mov_b64 s[46:47], 0
	v_mov_b32_e32 v12, v3
	v_mov_b32_e32 v13, v20
	;; [unrolled: 1-line block ×3, first 2 shown]
	s_branch .LBB14_98
.LBB14_97:                              ;   in Loop: Header=BB14_98 Depth=3
	s_or_b64 exec, exec, s[16:17]
	ds_bpermute_b32 v24, v17, v24
	v_add_u32_e32 v23, 8, v23
	v_cmp_le_i32_e64 s[14:15], s33, v23
	v_add_u32_e32 v13, s49, v13
	s_or_b64 s[46:47], s[14:15], s[46:47]
	s_waitcnt lgkmcnt(0)
	v_add_u32_e32 v11, v24, v11
	v_add_u32_e32 v12, s67, v12
	s_andn2_b64 exec, exec, s[46:47]
	s_cbranch_execz .LBB14_91
.LBB14_98:                              ;   Parent Loop BB14_74 Depth=1
                                        ;     Parent Loop BB14_94 Depth=2
                                        ; =>    This Inner Loop Header: Depth=3
	ds_read_b32 v25, v12
	s_waitcnt lgkmcnt(0)
	v_cmp_ne_u32_e64 s[14:15], 0, v25
	v_cndmask_b32_e64 v24, 0, 1, s[14:15]
	s_nop 1
	v_mov_b32_dpp v24, v24 row_shr:1 row_mask:0xf bank_mask:0xf bound_ctrl:1
	v_addc_co_u32_e64 v26, s[16:17], 0, v24, s[14:15]
	s_nop 1
	v_mov_b32_dpp v26, v26 row_shr:2 row_mask:0xf bank_mask:0xf bound_ctrl:1
	v_addc_co_u32_e64 v24, s[16:17], v26, v24, s[14:15]
	s_nop 1
	v_add_u32_dpp v24, v24, v24 row_shr:4 row_mask:0xf bank_mask:0xf bound_ctrl:1
	s_nop 1
	v_add_u32_dpp v24, v24, v24 row_shr:8 row_mask:0xf bank_mask:0xf bound_ctrl:1
	s_nop 1
	v_mov_b32_dpp v26, v24 row_newbcast:7 row_mask:0xf bank_mask:0xf bound_ctrl:1
	v_cndmask_b32_e64 v26, v26, 0, s[8:9]
	v_sub_u32_e32 v24, v24, v26
	s_and_saveexec_b64 s[16:17], s[14:15]
	s_cbranch_execz .LBB14_97
; %bb.99:                               ;   in Loop: Header=BB14_98 Depth=3
	v_add_u32_e32 v26, v13, v25
	v_ashrrev_i32_e32 v27, 31, v26
	v_lshlrev_b64 v[26:27], 2, v[26:27]
	v_mov_b32_e32 v28, s62
	v_add_co_u32_e64 v26, s[14:15], s61, v26
	v_addc_co_u32_e64 v27, s[14:15], v28, v27, s[14:15]
	global_load_dword v30, v[26:27], off
	v_add_u32_e32 v26, s69, v23
	v_perm_b32 v25, v25, v26, s68
	v_add_u32_e32 v26, v24, v11
	v_ashrrev_i32_e32 v27, 31, v26
	v_lshlrev_b64 v[26:27], 2, v[26:27]
	v_mov_b32_e32 v29, s60
	v_add_co_u32_e64 v28, s[14:15], s59, v26
	v_add_u32_e32 v25, 0xff000000, v25
	v_addc_co_u32_e64 v29, s[14:15], v29, v27, s[14:15]
	global_store_dword v[28:29], v25, off
	v_mov_b32_e32 v25, s64
	v_add_co_u32_e64 v26, s[14:15], s63, v26
	v_addc_co_u32_e64 v27, s[14:15], v25, v27, s[14:15]
	s_waitcnt vmcnt(1)
	global_store_dword v[26:27], v30, off
	s_branch .LBB14_97
.LBB14_100:
	s_and_saveexec_b64 s[0:1], s[4:5]
	s_cbranch_execz .LBB14_111
; %bb.101:
	s_and_b32 s0, s40, 0xffffff
	s_lshl_b32 s1, s48, 24
	s_or_b32 s4, s1, s0
	s_mov_b32 s5, s4
	s_add_i32 s56, s56, 4
	s_mov_b64 s[2:3], 0
	s_mov_b32 s8, 0
	v_mov_b32_e32 v1, 0
	s_branch .LBB14_103
.LBB14_102:                             ;   in Loop: Header=BB14_103 Depth=1
	s_or_b64 exec, exec, s[12:13]
	v_add_u32_e32 v0, 0x100, v0
	v_cmp_le_i32_e32 vcc, s41, v0
	s_or_b64 s[2:3], vcc, s[2:3]
	s_andn2_b64 exec, exec, s[2:3]
	s_cbranch_execz .LBB14_111
.LBB14_103:                             ; =>This Loop Header: Depth=1
                                        ;     Child Loop BB14_106 Depth 2
                                        ;     Child Loop BB14_110 Depth 2
	v_lshlrev_b32_e32 v2, 2, v0
	v_add_u32_e32 v3, 0, v2
	v_add_u32_e32 v4, s56, v2
	ds_read_b32 v2, v3
	ds_read_b32 v8, v4
	s_waitcnt lgkmcnt(0)
	v_cmp_gt_i32_e32 vcc, v8, v2
	s_and_saveexec_b64 s[12:13], vcc
	s_cbranch_execz .LBB14_102
; %bb.104:                              ;   in Loop: Header=BB14_103 Depth=1
	v_sub_u32_e32 v3, v8, v2
	v_cmp_lt_u32_e32 vcc, 15, v3
	s_mov_b64 s[6:7], -1
	s_and_saveexec_b64 s[0:1], vcc
	s_cbranch_execz .LBB14_108
; %bb.105:                              ;   in Loop: Header=BB14_103 Depth=1
	v_and_b32_e32 v6, -16, v3
	s_mov_b64 s[14:15], 0
	v_mov_b32_e32 v4, v2
	v_mov_b32_e32 v7, v6
.LBB14_106:                             ;   Parent Loop BB14_103 Depth=1
                                        ; =>  This Inner Loop Header: Depth=2
	v_ashrrev_i32_e32 v5, 31, v4
	v_lshlrev_b64 v[14:15], 2, v[4:5]
	v_mov_b32_e32 v5, s21
	v_add_co_u32_e32 v16, vcc, s20, v14
	v_addc_co_u32_e32 v17, vcc, v5, v15, vcc
	s_mov_b32 s6, s4
	s_mov_b32 s7, s5
	v_pk_mov_b32 v[12:13], s[6:7], s[6:7] op_sel:[0,1]
	v_mov_b32_e32 v5, s23
	v_add_co_u32_e32 v14, vcc, s22, v14
	v_pk_mov_b32 v[10:11], s[4:5], s[4:5] op_sel:[0,1]
	v_addc_co_u32_e32 v15, vcc, v5, v15, vcc
	s_mov_b32 s10, s8
	s_mov_b32 s11, s8
	v_add_u32_e32 v7, -16, v7
	global_store_dwordx4 v[16:17], v[10:13], off
	global_store_dwordx4 v[16:17], v[10:13], off offset:16
	global_store_dwordx4 v[16:17], v[10:13], off offset:32
	;; [unrolled: 1-line block ×3, first 2 shown]
	s_mov_b32 s9, s8
	v_pk_mov_b32 v[12:13], s[10:11], s[10:11] op_sel:[0,1]
	v_cmp_eq_u32_e32 vcc, 0, v7
	v_pk_mov_b32 v[10:11], s[8:9], s[8:9] op_sel:[0,1]
	s_or_b64 s[14:15], vcc, s[14:15]
	v_add_u32_e32 v4, 16, v4
	global_store_dwordx4 v[14:15], v[10:13], off
	global_store_dwordx4 v[14:15], v[10:13], off offset:16
	global_store_dwordx4 v[14:15], v[10:13], off offset:32
	;; [unrolled: 1-line block ×3, first 2 shown]
	s_andn2_b64 exec, exec, s[14:15]
	s_cbranch_execnz .LBB14_106
; %bb.107:                              ;   in Loop: Header=BB14_103 Depth=1
	s_or_b64 exec, exec, s[14:15]
	v_cmp_ne_u32_e32 vcc, v3, v6
	v_add_u32_e32 v2, v2, v6
	s_orn2_b64 s[6:7], vcc, exec
.LBB14_108:                             ;   in Loop: Header=BB14_103 Depth=1
	s_or_b64 exec, exec, s[0:1]
	s_and_b64 exec, exec, s[6:7]
	s_cbranch_execz .LBB14_102
; %bb.109:                              ;   in Loop: Header=BB14_103 Depth=1
	v_ashrrev_i32_e32 v3, 31, v2
	v_lshlrev_b64 v[6:7], 2, v[2:3]
	v_mov_b32_e32 v3, s21
	v_add_co_u32_e32 v4, vcc, s20, v6
	v_addc_co_u32_e32 v5, vcc, v3, v7, vcc
	v_mov_b32_e32 v3, s23
	v_add_co_u32_e32 v6, vcc, s22, v6
	v_addc_co_u32_e32 v7, vcc, v3, v7, vcc
	s_mov_b64 s[6:7], 0
.LBB14_110:                             ;   Parent Loop BB14_103 Depth=1
                                        ; =>  This Inner Loop Header: Depth=2
	global_store_dword v[6:7], v1, off
	v_add_co_u32_e32 v6, vcc, 4, v6
	v_mov_b32_e32 v3, s4
	v_add_u32_e32 v2, 1, v2
	v_addc_co_u32_e32 v7, vcc, 0, v7, vcc
	global_store_dword v[4:5], v3, off
	v_cmp_ge_i32_e32 vcc, v2, v8
	v_add_co_u32_e64 v4, s[0:1], 4, v4
	s_or_b64 s[6:7], vcc, s[6:7]
	v_addc_co_u32_e64 v5, vcc, 0, v5, s[0:1]
	s_andn2_b64 exec, exec, s[6:7]
	s_cbranch_execnz .LBB14_110
	s_branch .LBB14_102
.LBB14_111:
	s_endpgm
	.section	.rodata,"a",@progbits
	.p2align	6, 0x0
	.amdhsa_kernel _ZN5aiter22opus_moe_sorting_entryINS_16MoeSortingKernelINS_19MoeSortingProblemExIifLi4ELb0ELb1ELb0ELb1ELi0EEEEENS4_5KargsEEEvT0_
		.amdhsa_group_segment_fixed_size 0
		.amdhsa_private_segment_fixed_size 0
		.amdhsa_kernarg_size 400
		.amdhsa_user_sgpr_count 6
		.amdhsa_user_sgpr_private_segment_buffer 1
		.amdhsa_user_sgpr_dispatch_ptr 0
		.amdhsa_user_sgpr_queue_ptr 0
		.amdhsa_user_sgpr_kernarg_segment_ptr 1
		.amdhsa_user_sgpr_dispatch_id 0
		.amdhsa_user_sgpr_flat_scratch_init 0
		.amdhsa_user_sgpr_kernarg_preload_length 0
		.amdhsa_user_sgpr_kernarg_preload_offset 0
		.amdhsa_user_sgpr_private_segment_size 0
		.amdhsa_uses_dynamic_stack 0
		.amdhsa_system_sgpr_private_segment_wavefront_offset 0
		.amdhsa_system_sgpr_workgroup_id_x 1
		.amdhsa_system_sgpr_workgroup_id_y 0
		.amdhsa_system_sgpr_workgroup_id_z 0
		.amdhsa_system_sgpr_workgroup_info 0
		.amdhsa_system_vgpr_workitem_id 0
		.amdhsa_next_free_vgpr 31
		.amdhsa_next_free_sgpr 70
		.amdhsa_accum_offset 32
		.amdhsa_reserve_vcc 1
		.amdhsa_reserve_flat_scratch 0
		.amdhsa_float_round_mode_32 0
		.amdhsa_float_round_mode_16_64 0
		.amdhsa_float_denorm_mode_32 3
		.amdhsa_float_denorm_mode_16_64 3
		.amdhsa_dx10_clamp 1
		.amdhsa_ieee_mode 1
		.amdhsa_fp16_overflow 0
		.amdhsa_tg_split 0
		.amdhsa_exception_fp_ieee_invalid_op 0
		.amdhsa_exception_fp_denorm_src 0
		.amdhsa_exception_fp_ieee_div_zero 0
		.amdhsa_exception_fp_ieee_overflow 0
		.amdhsa_exception_fp_ieee_underflow 0
		.amdhsa_exception_fp_ieee_inexact 0
		.amdhsa_exception_int_div_zero 0
	.end_amdhsa_kernel
	.section	.text._ZN5aiter22opus_moe_sorting_entryINS_16MoeSortingKernelINS_19MoeSortingProblemExIifLi4ELb0ELb1ELb0ELb1ELi0EEEEENS4_5KargsEEEvT0_,"axG",@progbits,_ZN5aiter22opus_moe_sorting_entryINS_16MoeSortingKernelINS_19MoeSortingProblemExIifLi4ELb0ELb1ELb0ELb1ELi0EEEEENS4_5KargsEEEvT0_,comdat
.Lfunc_end14:
	.size	_ZN5aiter22opus_moe_sorting_entryINS_16MoeSortingKernelINS_19MoeSortingProblemExIifLi4ELb0ELb1ELb0ELb1ELi0EEEEENS4_5KargsEEEvT0_, .Lfunc_end14-_ZN5aiter22opus_moe_sorting_entryINS_16MoeSortingKernelINS_19MoeSortingProblemExIifLi4ELb0ELb1ELb0ELb1ELi0EEEEENS4_5KargsEEEvT0_
                                        ; -- End function
	.section	.AMDGPU.csdata,"",@progbits
; Kernel info:
; codeLenInByte = 5088
; NumSgprs: 74
; NumVgprs: 31
; NumAgprs: 0
; TotalNumVgprs: 31
; ScratchSize: 0
; MemoryBound: 0
; FloatMode: 240
; IeeeMode: 1
; LDSByteSize: 0 bytes/workgroup (compile time only)
; SGPRBlocks: 9
; VGPRBlocks: 3
; NumSGPRsForWavesPerEU: 74
; NumVGPRsForWavesPerEU: 31
; AccumOffset: 32
; Occupancy: 8
; WaveLimiterHint : 1
; COMPUTE_PGM_RSRC2:SCRATCH_EN: 0
; COMPUTE_PGM_RSRC2:USER_SGPR: 6
; COMPUTE_PGM_RSRC2:TRAP_HANDLER: 0
; COMPUTE_PGM_RSRC2:TGID_X_EN: 1
; COMPUTE_PGM_RSRC2:TGID_Y_EN: 0
; COMPUTE_PGM_RSRC2:TGID_Z_EN: 0
; COMPUTE_PGM_RSRC2:TIDIG_COMP_CNT: 0
; COMPUTE_PGM_RSRC3_GFX90A:ACCUM_OFFSET: 7
; COMPUTE_PGM_RSRC3_GFX90A:TG_SPLIT: 0
	.section	.text._ZN5aiter22opus_moe_sorting_entryINS_16MoeSortingKernelINS_19MoeSortingProblemExIifLi2ELb0ELb1ELb0ELb1ELi0EEEEENS4_5KargsEEEvT0_,"axG",@progbits,_ZN5aiter22opus_moe_sorting_entryINS_16MoeSortingKernelINS_19MoeSortingProblemExIifLi2ELb0ELb1ELb0ELb1ELi0EEEEENS4_5KargsEEEvT0_,comdat
	.protected	_ZN5aiter22opus_moe_sorting_entryINS_16MoeSortingKernelINS_19MoeSortingProblemExIifLi2ELb0ELb1ELb0ELb1ELi0EEEEENS4_5KargsEEEvT0_ ; -- Begin function _ZN5aiter22opus_moe_sorting_entryINS_16MoeSortingKernelINS_19MoeSortingProblemExIifLi2ELb0ELb1ELb0ELb1ELi0EEEEENS4_5KargsEEEvT0_
	.globl	_ZN5aiter22opus_moe_sorting_entryINS_16MoeSortingKernelINS_19MoeSortingProblemExIifLi2ELb0ELb1ELb0ELb1ELi0EEEEENS4_5KargsEEEvT0_
	.p2align	8
	.type	_ZN5aiter22opus_moe_sorting_entryINS_16MoeSortingKernelINS_19MoeSortingProblemExIifLi2ELb0ELb1ELb0ELb1ELi0EEEEENS4_5KargsEEEvT0_,@function
_ZN5aiter22opus_moe_sorting_entryINS_16MoeSortingKernelINS_19MoeSortingProblemExIifLi2ELb0ELb1ELb0ELb1ELi0EEEEENS4_5KargsEEEvT0_: ; @_ZN5aiter22opus_moe_sorting_entryINS_16MoeSortingKernelINS_19MoeSortingProblemExIifLi2ELb0ELb1ELb0ELb1ELi0EEEEENS4_5KargsEEEvT0_
; %bb.0:
	s_load_dwordx8 s[20:27], s[4:5], 0x20
	s_load_dwordx8 s[36:43], s[4:5], 0x40
	s_cmp_eq_u32 s6, 0
	s_cbranch_scc1 .LBB15_7
; %bb.1:
	s_waitcnt lgkmcnt(0)
	s_cmp_eq_u64 s[36:37], 0
	s_mov_b64 s[2:3], 0
	s_cbranch_scc1 .LBB15_6
; %bb.2:
	s_mul_i32 s1, s42, s40
	s_ashr_i32 s7, s43, 31
	s_mul_hi_i32 s0, s42, s40
	s_mul_i32 s7, s1, s7
	s_mul_hi_u32 s8, s1, s43
	s_add_i32 s7, s8, s7
	s_mul_i32 s0, s0, s43
	s_add_i32 s8, s7, s0
	s_ashr_i32 s0, s8, 31
	s_mul_i32 s1, s1, s43
	s_lshr_b32 s0, s0, 28
	s_add_u32 s0, s1, s0
	s_addc_u32 s1, s8, 0
	v_lshl_add_u32 v1, s6, 8, v0
	s_ashr_i64 s[8:9], s[0:1], 4
	v_add_u32_e32 v2, 0xffffff00, v1
	v_mov_b32_e32 v3, 0
	s_mov_b32 s7, 0
	v_cmp_gt_i64_e32 vcc, s[8:9], v[2:3]
	s_and_saveexec_b64 s[10:11], vcc
	s_cbranch_execz .LBB15_5
; %bb.3:
	s_load_dword s0, s[4:5], 0x90
	v_lshlrev_b64 v[4:5], 4, v[2:3]
	v_mov_b32_e32 v1, s37
	v_add_co_u32_e32 v8, vcc, s36, v4
	s_waitcnt lgkmcnt(0)
	s_lshl_b32 s0, s0, 8
	s_add_i32 s6, s0, 0xffffff00
	s_lshl_b64 s[12:13], s[6:7], 4
	v_pk_mov_b32 v[6:7], v[2:3], v[2:3] op_sel:[0,1]
	v_addc_co_u32_e32 v9, vcc, v1, v5, vcc
	s_mov_b64 s[14:15], 0
	v_mov_b32_e32 v2, v3
	v_mov_b32_e32 v4, v3
	;; [unrolled: 1-line block ×5, first 2 shown]
.LBB15_4:                               ; =>This Inner Loop Header: Depth=1
	v_add_co_u32_e32 v6, vcc, s6, v6
	v_addc_co_u32_e32 v7, vcc, v7, v1, vcc
	global_store_dwordx4 v[8:9], v[2:5], off
	v_add_co_u32_e32 v8, vcc, s12, v8
	v_cmp_le_i64_e64 s[0:1], s[8:9], v[6:7]
	s_or_b64 s[14:15], s[0:1], s[14:15]
	v_addc_co_u32_e32 v9, vcc, v9, v10, vcc
	s_andn2_b64 exec, exec, s[14:15]
	s_cbranch_execnz .LBB15_4
.LBB15_5:
	s_or_b64 exec, exec, s[10:11]
.LBB15_6:
	s_andn2_b64 vcc, exec, s[2:3]
	s_cbranch_vccz .LBB15_8
	s_branch .LBB15_111
.LBB15_7:
.LBB15_8:
	s_load_dwordx8 s[44:51], s[4:5], 0x64
	s_load_dwordx4 s[28:31], s[4:5], 0x0
	s_load_dwordx2 s[18:19], s[4:5], 0x10
	s_load_dwordx2 s[34:35], s[4:5], 0x84
	v_lshrrev_b32_e32 v1, 6, v0
	s_waitcnt lgkmcnt(0)
	s_add_i32 s33, s44, -2
	s_mul_i32 s53, s33, s41
	v_readfirstlane_b32 s16, v1
	s_add_i32 s52, s41, 1
	v_cmp_gt_i32_e64 s[0:1], s53, v0
	v_xad_u32 v8, v0, -1, s53
	s_and_saveexec_b64 s[2:3], s[0:1]
	s_cbranch_execz .LBB15_18
; %bb.9:
	s_movk_i32 s6, 0xff
	s_mov_b32 s5, 0
	s_mov_b32 s4, s34
	s_sub_i32 s10, s52, s51
	v_cmp_lt_u32_e32 vcc, s6, v8
	s_mov_b64 s[8:9], 0
                                        ; implicit-def: $vgpr1
                                        ; implicit-def: $sgpr11
	s_and_saveexec_b64 s[6:7], vcc
	s_xor_b64 s[6:7], exec, s[6:7]
	s_cbranch_execnz .LBB15_12
; %bb.10:
	s_or_saveexec_b64 s[6:7], s[6:7]
	v_mov_b32_e32 v2, s11
	s_xor_b64 exec, exec, s[6:7]
	s_cbranch_execnz .LBB15_15
.LBB15_11:
	s_or_b64 exec, exec, s[6:7]
	s_and_b64 exec, exec, s[8:9]
	s_cbranch_execnz .LBB15_16
	s_branch .LBB15_18
.LBB15_12:
	v_lshrrev_b32_e32 v1, 8, v8
	v_add_u32_e32 v4, 1, v1
	s_lshl_b32 s11, s41, 3
	v_and_b32_e32 v5, 0x1fffffe, v4
	v_add_u32_e32 v1, 0x100, v0
	s_add_i32 s8, s11, 0
	s_mov_b32 s12, s4
	s_mov_b32 s13, s35
	;; [unrolled: 1-line block ×4, first 2 shown]
	v_lshl_add_u32 v6, v0, 2, s8
	s_mov_b64 s[8:9], 0
	v_mov_b32_e32 v7, 0
	v_mov_b32_e32 v9, v5
	v_pk_mov_b32 v[2:3], v[0:1], v[0:1] op_sel:[0,1]
.LBB15_13:                              ; =>This Inner Loop Header: Depth=1
	v_mul_hi_u32 v1, s4, v2
	v_mul_hi_u32 v10, s12, v3
	v_add_u32_e32 v10, v3, v10
	v_add_u32_e32 v1, v2, v1
	v_add_u32_e32 v9, -2, v9
	v_lshrrev_b32_e32 v1, s13, v1
	v_lshrrev_b32_e32 v10, s14, v10
	v_cmp_eq_u32_e32 vcc, 0, v9
	v_mul_lo_u32 v10, v10, s15
	v_mul_lo_u32 v1, v1, s10
	v_add_u32_e32 v3, 0x200, v3
	v_add_u32_e32 v2, 0x200, v2
	s_or_b64 s[8:9], vcc, s[8:9]
	v_lshl_add_u32 v1, v1, 2, v6
	v_lshl_add_u32 v10, v10, 2, v6
	v_add_u32_e32 v6, 0x800, v6
	ds_write_b32 v1, v7 offset:8
	ds_write_b32 v10, v7 offset:1032
	s_andn2_b64 exec, exec, s[8:9]
	s_cbranch_execnz .LBB15_13
; %bb.14:
	s_or_b64 exec, exec, s[8:9]
	v_cmp_ne_u32_e32 vcc, v4, v5
	v_lshl_add_u32 v1, v5, 8, v0
	s_and_b64 s[8:9], vcc, exec
	s_or_saveexec_b64 s[6:7], s[6:7]
	v_mov_b32_e32 v2, s11
	s_xor_b64 exec, exec, s[6:7]
	s_cbranch_execz .LBB15_11
.LBB15_15:
	s_lshl_b32 s11, s41, 3
	v_mov_b32_e32 v2, s11
	s_or_b64 s[8:9], s[8:9], exec
	v_mov_b32_e32 v1, v0
	s_or_b64 exec, exec, s[6:7]
	s_and_b64 exec, exec, s[8:9]
	s_cbranch_execz .LBB15_18
.LBB15_16:
	v_lshl_add_u32 v2, v1, 2, v2
	v_mad_u64_u32 v[4:5], s[6:7], v1, s4, 0
	s_lshl_b64 s[4:5], s[4:5], 8
	s_lshl_b32 s8, s10, 2
	v_add3_u32 v2, v2, 0, 8
	s_mov_b64 s[6:7], 0
	v_mov_b32_e32 v3, 0
	v_mov_b32_e32 v6, s5
.LBB15_17:                              ; =>This Inner Loop Header: Depth=1
	v_add_co_u32_e32 v4, vcc, s4, v4
	v_add_u32_e32 v7, v1, v5
	v_add_u32_e32 v1, 0x100, v1
	v_addc_co_u32_e32 v5, vcc, v5, v6, vcc
	v_lshrrev_b32_e32 v7, s35, v7
	v_cmp_le_i32_e32 vcc, s53, v1
	v_mad_u64_u32 v[10:11], s[10:11], s8, v7, v[2:3]
	v_add_u32_e32 v2, 0x400, v2
	s_or_b64 s[6:7], vcc, s[6:7]
	ds_write_b32 v10, v3
	s_andn2_b64 exec, exec, s[6:7]
	s_cbranch_execnz .LBB15_17
.LBB15_18:
	s_or_b64 exec, exec, s[2:3]
	s_lshl_b32 s2, s52, 3
	s_add_i32 s54, s2, 0
	s_cmp_gt_i32 s40, 0
	s_mul_i32 s55, s48, s33
	s_mov_b32 s5, 0
	s_cselect_b64 s[12:13], -1, 0
	s_cmp_lt_i32 s40, 1
	v_cmp_gt_i32_e32 vcc, s55, v0
	s_waitcnt lgkmcnt(0)
	s_barrier
	s_cbranch_scc1 .LBB15_26
; %bb.19:
	s_mov_b32 s4, s49
	v_mad_u64_u32 v[2:3], s[2:3], v0, s49, 0
	s_lshl_b64 s[6:7], s[4:5], 8
	v_mov_b32_e32 v5, 0
	s_mov_b32 s4, 0
	s_branch .LBB15_21
.LBB15_20:                              ;   in Loop: Header=BB15_21 Depth=1
	s_or_b64 exec, exec, s[8:9]
	s_add_i32 s4, s4, s33
	s_add_i32 s5, s5, s55
	s_cmp_ge_i32 s4, s40
	s_barrier
	s_cbranch_scc1 .LBB15_26
.LBB15_21:                              ; =>This Loop Header: Depth=1
                                        ;     Child Loop BB15_24 Depth 2
	s_and_saveexec_b64 s[8:9], vcc
	s_cbranch_execz .LBB15_20
; %bb.22:                               ;   in Loop: Header=BB15_21 Depth=1
	s_mov_b64 s[10:11], 0
	v_pk_mov_b32 v[6:7], v[2:3], v[2:3] op_sel:[0,1]
	v_mov_b32_e32 v1, v0
	s_branch .LBB15_24
.LBB15_23:                              ;   in Loop: Header=BB15_24 Depth=2
	s_or_b64 exec, exec, s[14:15]
	v_add_u32_e32 v1, 0x100, v1
	v_cmp_le_i32_e64 s[2:3], s55, v1
	v_mov_b32_e32 v4, s7
	s_or_b64 s[10:11], s[2:3], s[10:11]
	v_add_co_u32_e64 v6, s[2:3], s6, v6
	v_addc_co_u32_e64 v7, s[2:3], v7, v4, s[2:3]
	s_waitcnt lgkmcnt(0)
	s_andn2_b64 exec, exec, s[10:11]
	s_cbranch_execz .LBB15_20
.LBB15_24:                              ;   Parent Loop BB15_21 Depth=1
                                        ; =>  This Inner Loop Header: Depth=2
	v_add_u32_e32 v4, v1, v7
	v_lshrrev_b32_e32 v9, s50, v4
	v_add_u32_e32 v4, s4, v9
	v_cmp_gt_i32_e64 s[2:3], s40, v4
	s_and_saveexec_b64 s[14:15], s[2:3]
	s_cbranch_execz .LBB15_23
; %bb.25:                               ;   in Loop: Header=BB15_24 Depth=2
	v_add_u32_e32 v4, s5, v1
	v_lshlrev_b64 v[10:11], 2, v[4:5]
	v_mov_b32_e32 v4, s29
	v_add_co_u32_e64 v10, s[2:3], s28, v10
	v_addc_co_u32_e64 v11, s[2:3], v4, v11, s[2:3]
	global_load_dword v4, v[10:11], off
	v_mul_lo_u32 v9, v9, s52
	v_lshlrev_b32_e32 v9, 2, v9
	s_waitcnt vmcnt(0)
	v_lshlrev_b32_e32 v4, 2, v4
	v_add3_u32 v4, s54, v4, v9
	ds_read_b32 v9, v4
	s_waitcnt lgkmcnt(0)
	v_add_u32_e32 v9, 1, v9
	ds_write_b32 v4, v9
	s_branch .LBB15_23
.LBB15_26:
	v_cmp_eq_u32_e32 vcc, 0, v0
	s_and_saveexec_b64 s[2:3], vcc
	s_cbranch_execz .LBB15_28
; %bb.27:
	v_mov_b32_e32 v1, 0
	ds_write_b32 v1, v1
.LBB15_28:
	s_or_b64 exec, exec, s[2:3]
	v_mbcnt_lo_u32_b32 v1, -1, 0
	v_and_b32_e32 v15, 7, v0
	v_mbcnt_hi_u32_b32 v9, -1, v1
	v_lshrrev_b32_e32 v14, 3, v0
	v_mul_lo_u32 v1, s52, v15
	v_cmp_gt_i32_e64 s[2:3], s41, v14
	v_lshlrev_b32_e32 v10, 2, v1
	v_lshlrev_b32_e32 v11, 2, v14
	s_and_saveexec_b64 s[8:9], s[2:3]
	s_cbranch_execz .LBB15_36
; %bb.29:
	s_cmp_gt_i32 s44, 2
	s_mul_i32 s6, s41, 40
	v_add3_u32 v4, v10, s6, v11
	s_cselect_b64 s[6:7], -1, 0
	s_lshl_b32 s10, s41, 3
	v_lshlrev_b32_e32 v3, 2, v9
	s_lshl_b32 s17, s41, 6
	v_add3_u32 v5, v10, s10, v11
	v_cndmask_b32_e64 v6, 0, 1, s[6:7]
	v_xor_b32_e32 v1, 4, v3
	v_xor_b32_e32 v2, 8, v3
	;; [unrolled: 1-line block ×3, first 2 shown]
	v_cmp_eq_u32_e64 s[4:5], 0, v15
	v_add3_u32 v4, v4, 0, 40
	s_add_i32 s17, s17, 64
	v_add3_u32 v5, v5, 0, 8
	s_mov_b64 s[10:11], 0
	v_cmp_ne_u32_e64 s[6:7], 1, v6
	v_mov_b32_e32 v6, v14
	s_branch .LBB15_31
.LBB15_30:                              ;   in Loop: Header=BB15_31 Depth=1
	s_or_b64 exec, exec, s[14:15]
	v_add_u32_e32 v6, 32, v6
	v_cmp_le_i32_e32 vcc, s41, v6
	v_add_u32_e32 v4, 0x80, v4
	s_or_b64 s[10:11], vcc, s[10:11]
	v_add_u32_e32 v5, 0x80, v5
	s_andn2_b64 exec, exec, s[10:11]
	s_cbranch_execz .LBB15_36
.LBB15_31:                              ; =>This Loop Header: Depth=1
                                        ;     Child Loop BB15_33 Depth 2
	s_and_b64 vcc, exec, s[6:7]
	v_mov_b32_e32 v7, 0
	s_cbranch_vccnz .LBB15_34
; %bb.32:                               ;   in Loop: Header=BB15_31 Depth=1
	s_mov_b32 s14, 0
	v_mov_b32_e32 v7, 0
	s_mov_b32 s15, 0
.LBB15_33:                              ;   Parent Loop BB15_31 Depth=1
                                        ; =>  This Inner Loop Header: Depth=2
	v_add_u32_e32 v12, s14, v5
	v_add_u32_e32 v13, s14, v4
	ds_read_b32 v12, v12
	ds_read_b32 v13, v13
	s_add_i32 s15, s15, 16
	s_add_i32 s14, s14, s17
	s_cmp_lt_i32 s15, s33
	s_waitcnt lgkmcnt(1)
	ds_bpermute_b32 v16, v1, v12
	s_waitcnt lgkmcnt(1)
	ds_bpermute_b32 v17, v1, v13
	s_waitcnt lgkmcnt(1)
	v_add_u32_e32 v12, v16, v12
	s_waitcnt lgkmcnt(0)
	v_add_u32_e32 v13, v17, v13
	ds_bpermute_b32 v16, v2, v12
	ds_bpermute_b32 v17, v2, v13
	s_waitcnt lgkmcnt(1)
	v_add_u32_e32 v12, v16, v12
	s_waitcnt lgkmcnt(0)
	v_add_u32_e32 v13, v17, v13
	ds_bpermute_b32 v16, v3, v12
	ds_bpermute_b32 v17, v3, v13
	s_waitcnt lgkmcnt(1)
	v_add3_u32 v7, v12, v7, v16
	s_waitcnt lgkmcnt(0)
	v_add3_u32 v7, v7, v13, v17
	s_cbranch_scc1 .LBB15_33
.LBB15_34:                              ;   in Loop: Header=BB15_31 Depth=1
	s_and_saveexec_b64 s[14:15], s[4:5]
	s_cbranch_execz .LBB15_30
; %bb.35:                               ;   in Loop: Header=BB15_31 Depth=1
	v_lshl_add_u32 v12, v6, 2, 0
	ds_write_b32 v12, v7 offset:4
	s_branch .LBB15_30
.LBB15_36:
	s_or_b64 exec, exec, s[8:9]
	s_lshl_b32 s17, s41, 2
	s_add_i32 s36, s17, 0
	v_mov_b32_e32 v1, 0
	v_mov_b32_e32 v2, s36
	v_cmp_gt_i32_e64 s[4:5], s41, v0
	ds_write_b32 v2, v1 offset:4
	s_and_saveexec_b64 s[6:7], s[4:5]
	s_cbranch_execz .LBB15_46
; %bb.37:
	v_xad_u32 v1, v0, -1, s41
	s_movk_i32 s8, 0xff
	v_cmp_lt_u32_e32 vcc, s8, v1
	s_mov_b64 s[10:11], 0
                                        ; implicit-def: $vgpr2
	s_and_saveexec_b64 s[8:9], vcc
	s_xor_b64 s[8:9], exec, s[8:9]
	s_cbranch_execnz .LBB15_40
; %bb.38:
	s_or_saveexec_b64 s[8:9], s[8:9]
	v_mov_b32_e32 v1, s17
	s_xor_b64 exec, exec, s[8:9]
	s_cbranch_execnz .LBB15_43
.LBB15_39:
	s_or_b64 exec, exec, s[8:9]
	s_and_b64 exec, exec, s[10:11]
	s_cbranch_execnz .LBB15_44
	s_branch .LBB15_46
.LBB15_40:
	v_lshrrev_b32_e32 v1, 8, v1
	v_add_u32_e32 v6, 1, v1
	v_and_b32_e32 v7, 0x1fffffe, v6
	v_add_u32_e32 v1, 0x100, v0
	v_lshlrev_b32_e32 v2, 2, v0
	v_add3_u32 v12, s36, v2, 8
	v_mov_b32_e32 v13, s19
	v_mov_b32_e32 v3, 0
	;; [unrolled: 1-line block ×3, first 2 shown]
	v_pk_mov_b32 v[4:5], v[0:1], v[0:1] op_sel:[0,1]
.LBB15_41:                              ; =>This Inner Loop Header: Depth=1
	v_mov_b32_e32 v2, v4
	v_lshlrev_b64 v[18:19], 2, v[2:3]
	v_mov_b32_e32 v2, v5
	v_add_co_u32_e32 v18, vcc, s18, v18
	v_addc_co_u32_e32 v19, vcc, v13, v19, vcc
	v_lshlrev_b64 v[20:21], 2, v[2:3]
	v_add_co_u32_e32 v20, vcc, s18, v20
	v_addc_co_u32_e32 v21, vcc, v13, v21, vcc
	global_load_dword v1, v[18:19], off
	global_load_dword v2, v[20:21], off
	v_add_u32_e32 v16, -2, v16
	v_cmp_eq_u32_e32 vcc, 0, v16
	v_add_u32_e32 v4, 0x200, v4
	v_add_u32_e32 v5, 0x200, v5
	s_or_b64 s[10:11], vcc, s[10:11]
	s_waitcnt vmcnt(0)
	ds_write2st64_b32 v12, v1, v2 offset1:4
	v_add_u32_e32 v12, 0x800, v12
	s_andn2_b64 exec, exec, s[10:11]
	s_cbranch_execnz .LBB15_41
; %bb.42:
	s_or_b64 exec, exec, s[10:11]
	v_cmp_ne_u32_e32 vcc, v6, v7
	v_lshl_add_u32 v2, v7, 8, v0
	s_and_b64 s[10:11], vcc, exec
	s_or_saveexec_b64 s[8:9], s[8:9]
	v_mov_b32_e32 v1, s17
	s_xor_b64 exec, exec, s[8:9]
	s_cbranch_execz .LBB15_39
.LBB15_43:
	v_mov_b32_e32 v1, s17
	s_or_b64 s[10:11], s[10:11], exec
	v_mov_b32_e32 v2, v0
	s_or_b64 exec, exec, s[8:9]
	s_and_b64 exec, exec, s[10:11]
	s_cbranch_execz .LBB15_46
.LBB15_44:
	v_mov_b32_e32 v3, 0
	v_lshlrev_b64 v[4:5], 2, v[2:3]
	v_lshl_add_u32 v1, v2, 2, v1
	v_mov_b32_e32 v3, s19
	v_add_co_u32_e32 v4, vcc, s18, v4
	v_add3_u32 v1, v1, 0, 8
	v_addc_co_u32_e32 v5, vcc, v3, v5, vcc
	s_mov_b64 s[8:9], 0
.LBB15_45:                              ; =>This Inner Loop Header: Depth=1
	global_load_dword v3, v[4:5], off
	v_add_co_u32_e32 v4, vcc, 0x400, v4
	v_add_u32_e32 v2, 0x100, v2
	v_addc_co_u32_e32 v5, vcc, 0, v5, vcc
	v_cmp_le_i32_e32 vcc, s41, v2
	s_or_b64 s[8:9], vcc, s[8:9]
	s_waitcnt vmcnt(0)
	ds_write_b32 v1, v3
	v_add_u32_e32 v1, 0x400, v1
	s_andn2_b64 exec, exec, s[8:9]
	s_cbranch_execnz .LBB15_45
.LBB15_46:
	s_or_b64 exec, exec, s[6:7]
	s_add_i32 s56, s36, 4
	s_cmp_lg_u32 s16, 0
	s_waitcnt lgkmcnt(0)
	s_barrier
	s_cbranch_scc1 .LBB15_57
; %bb.47:
	s_mov_b32 s16, 0
	s_cmp_lt_i32 s41, 1
	v_mov_b32_e32 v2, 0
	s_cbranch_scc1 .LBB15_54
; %bb.48:
	v_lshlrev_b32_e32 v2, 2, v9
	v_and_b32_e32 v3, 0xc0, v2
	v_cmp_eq_u32_e32 vcc, 0, v9
	s_add_i32 s37, s45, -1
	v_add_u32_e32 v1, -4, v3
	v_cmp_lt_u32_e64 s[6:7], 15, v9
	v_add_u32_e32 v3, 0xffffffbc, v3
	v_cmp_lt_u32_e64 s[8:9], 31, v9
	v_add_u32_e32 v4, 0, v2
	s_branch .LBB15_50
.LBB15_49:                              ;   in Loop: Header=BB15_50 Depth=1
	s_or_b64 exec, exec, s[14:15]
	s_add_i32 s16, s16, 64
	s_cmp_lt_i32 s16, s41
	v_add_u32_e32 v4, 0x100, v4
	s_waitcnt lgkmcnt(0)
	s_cbranch_scc0 .LBB15_54
.LBB15_50:                              ; =>This Inner Loop Header: Depth=1
	ds_read_b32 v7, v4 offset:4
	v_mov_b32_e32 v2, s16
	v_add_u32_e32 v5, s17, v4
	ds_read_b32 v6, v5 offset:8
	v_cndmask_b32_e32 v2, 0, v2, vcc
	s_waitcnt lgkmcnt(1)
	v_add_u32_e32 v7, s37, v7
	v_lshlrev_b32_e32 v2, 2, v2
	v_mul_hi_u32 v13, v7, s46
	v_add_u32_e32 v12, 0, v2
	v_add_u32_e32 v7, v7, v13
	v_lshrrev_b32_e32 v13, s47, v7
	v_add_u32_e32 v2, s56, v2
	ds_read_b32 v12, v12
	ds_read_b32 v7, v2
	v_mul_lo_u32 v2, v13, s45
	s_waitcnt lgkmcnt(2)
	v_cmp_ne_u32_e64 s[10:11], 0, v6
	v_cndmask_b32_e64 v2, 0, v2, s[10:11]
	s_waitcnt lgkmcnt(1)
	v_add_u32_e32 v2, v2, v12
	v_add_u32_e32 v13, s16, v9
	v_cmp_gt_i32_e64 s[10:11], s41, v13
	v_add_u32_dpp v2, v2, v2 row_shr:1 row_mask:0xf bank_mask:0xf bound_ctrl:1
	s_nop 1
	v_add_u32_dpp v2, v2, v2 row_shr:2 row_mask:0xf bank_mask:0xf bound_ctrl:1
	s_nop 1
	;; [unrolled: 2-line block ×3, first 2 shown]
	v_add_u32_dpp v2, v2, v2 row_shr:8 row_mask:0xf bank_mask:0xf bound_ctrl:1
	ds_bpermute_b32 v12, v1, v2
	s_waitcnt lgkmcnt(0)
	v_cndmask_b32_e64 v12, 0, v12, s[6:7]
	v_add_u32_e32 v2, v2, v12
	ds_bpermute_b32 v12, v3, v2
	s_waitcnt lgkmcnt(0)
	v_cndmask_b32_e64 v12, 0, v12, s[8:9]
	v_add_u32_e32 v2, v2, v12
	s_and_saveexec_b64 s[14:15], s[10:11]
	s_cbranch_execz .LBB15_52
; %bb.51:                               ;   in Loop: Header=BB15_50 Depth=1
	ds_write_b32 v4, v2 offset:4
.LBB15_52:                              ;   in Loop: Header=BB15_50 Depth=1
	s_or_b64 exec, exec, s[14:15]
	v_add_u32_e32 v6, v6, v7
	s_nop 1
	v_add_u32_dpp v6, v6, v6 row_shr:1 row_mask:0xf bank_mask:0xf bound_ctrl:1
	s_nop 1
	v_add_u32_dpp v6, v6, v6 row_shr:2 row_mask:0xf bank_mask:0xf bound_ctrl:1
	;; [unrolled: 2-line block ×4, first 2 shown]
	ds_bpermute_b32 v7, v1, v6
	s_waitcnt lgkmcnt(0)
	v_cndmask_b32_e64 v7, 0, v7, s[6:7]
	v_add_u32_e32 v6, v7, v6
	ds_bpermute_b32 v7, v3, v6
	s_and_saveexec_b64 s[14:15], s[10:11]
	s_cbranch_execz .LBB15_49
; %bb.53:                               ;   in Loop: Header=BB15_50 Depth=1
	s_waitcnt lgkmcnt(0)
	v_cndmask_b32_e64 v7, 0, v7, s[8:9]
	v_add_u32_e32 v6, v7, v6
	ds_write_b32 v5, v6 offset:8
	s_branch .LBB15_49
.LBB15_54:
	v_add_u32_e32 v1, s16, v9
	v_subrev_u32_e32 v1, 63, v1
	v_cmp_eq_u32_e32 vcc, s41, v1
	s_and_saveexec_b64 s[6:7], vcc
	s_cbranch_execz .LBB15_56
; %bb.55:
	v_mov_b32_e32 v1, 0
	v_mov_b32_e32 v3, s40
	global_store_dwordx2 v1, v[2:3], s[26:27]
.LBB15_56:
	s_or_b64 exec, exec, s[6:7]
.LBB15_57:
	s_cmp_eq_u64 s[38:39], 0
	s_barrier
	s_cbranch_scc1 .LBB15_64
; %bb.58:
	s_mul_i32 s14, s48, s40
	v_cmp_gt_i32_e32 vcc, s14, v0
	s_and_saveexec_b64 s[8:9], vcc
	s_cbranch_execz .LBB15_63
; %bb.59:
	v_lshlrev_b32_e32 v1, 2, v0
	v_mov_b32_e32 v3, s29
	v_add_co_u32_e32 v2, vcc, s28, v1
	v_addc_co_u32_e32 v3, vcc, 0, v3, vcc
	v_mov_b32_e32 v5, s39
	v_add_co_u32_e32 v4, vcc, s38, v1
	v_addc_co_u32_e32 v5, vcc, 0, v5, vcc
	s_mov_b64 s[10:11], 0
	v_mov_b32_e32 v1, s19
	v_mov_b32_e32 v12, v0
	s_branch .LBB15_61
.LBB15_60:                              ;   in Loop: Header=BB15_61 Depth=1
	s_or_b64 exec, exec, s[6:7]
	v_add_co_u32_e32 v2, vcc, 0x400, v2
	v_add_u32_e32 v12, 0x100, v12
	v_addc_co_u32_e32 v3, vcc, 0, v3, vcc
	s_waitcnt lgkmcnt(0)
	global_store_dword v[4:5], v7, off
	v_add_co_u32_e32 v4, vcc, 0x400, v4
	v_cmp_le_i32_e64 s[6:7], s14, v12
	s_or_b64 s[10:11], s[6:7], s[10:11]
	v_addc_co_u32_e32 v5, vcc, 0, v5, vcc
	s_andn2_b64 exec, exec, s[10:11]
	s_cbranch_execz .LBB15_63
.LBB15_61:                              ; =>This Inner Loop Header: Depth=1
	global_load_dword v6, v[2:3], off
	s_waitcnt vmcnt(0)
	v_ashrrev_i32_e32 v7, 31, v6
	v_lshlrev_b64 v[16:17], 2, v[6:7]
	v_add_co_u32_e32 v16, vcc, s18, v16
	v_addc_co_u32_e32 v17, vcc, v1, v17, vcc
	global_load_dword v7, v[16:17], off
	s_waitcnt vmcnt(0)
	v_cmp_ne_u32_e32 vcc, 0, v7
	v_mov_b32_e32 v7, -1
	s_and_saveexec_b64 s[6:7], vcc
	s_cbranch_execz .LBB15_60
; %bb.62:                               ;   in Loop: Header=BB15_61 Depth=1
	v_lshl_add_u32 v6, v6, 2, s56
	ds_read_b32 v7, v6
	s_branch .LBB15_60
.LBB15_63:
	s_or_b64 exec, exec, s[8:9]
	s_barrier
.LBB15_64:
	s_and_saveexec_b64 s[8:9], s[4:5]
	s_cbranch_execz .LBB15_71
; %bb.65:
	s_mov_b64 s[10:11], 0
	v_mov_b32_e32 v3, 0
	v_mov_b32_e32 v4, v0
	s_branch .LBB15_67
.LBB15_66:                              ;   in Loop: Header=BB15_67 Depth=1
	s_or_b64 exec, exec, s[14:15]
	v_add_u32_e32 v4, 0x100, v4
	v_cmp_le_i32_e32 vcc, s41, v4
	s_or_b64 s[10:11], vcc, s[10:11]
	s_andn2_b64 exec, exec, s[10:11]
	s_cbranch_execz .LBB15_71
.LBB15_67:                              ; =>This Loop Header: Depth=1
                                        ;     Child Loop BB15_70 Depth 2
	s_waitcnt lgkmcnt(1)
	v_lshlrev_b32_e32 v1, 2, v4
	v_add_u32_e32 v2, 0, v1
	ds_read2_b32 v[6:7], v2 offset1:1
	v_add_u32_e32 v2, s56, v1
	ds_read_b32 v1, v2
	s_waitcnt lgkmcnt(1)
	v_cmp_ne_u32_e32 vcc, v6, v7
	ds_write_b32 v2, v6
	s_and_saveexec_b64 s[14:15], vcc
	s_cbranch_execz .LBB15_66
; %bb.68:                               ;   in Loop: Header=BB15_67 Depth=1
	v_mov_b32_e32 v5, v3
	v_lshlrev_b64 v[12:13], 2, v[4:5]
	v_mov_b32_e32 v2, s19
	v_add_co_u32_e32 v12, vcc, s18, v12
	v_addc_co_u32_e32 v13, vcc, v2, v13, vcc
	global_load_dword v2, v[12:13], off
	v_cmp_lt_i32_e64 s[6:7], v6, v7
	s_waitcnt vmcnt(0)
	v_cmp_ne_u32_e32 vcc, 0, v2
	s_and_b64 s[6:7], s[6:7], vcc
	s_and_b64 exec, exec, s[6:7]
	s_cbranch_execz .LBB15_66
; %bb.69:                               ;   in Loop: Header=BB15_67 Depth=1
	s_mov_b64 s[6:7], 0
.LBB15_70:                              ;   Parent Loop BB15_67 Depth=1
                                        ; =>  This Inner Loop Header: Depth=2
	v_mul_hi_u32 v2, s46, v6
	v_add_u32_e32 v2, v6, v2
	v_add_u32_e32 v6, s45, v6
	v_lshrrev_b32_e32 v2, s47, v2
	v_cmp_ge_i32_e32 vcc, v6, v7
	v_lshlrev_b64 v[12:13], 2, v[2:3]
	v_mov_b32_e32 v5, s25
	s_or_b64 s[6:7], vcc, s[6:7]
	v_add_co_u32_e32 v12, vcc, s24, v12
	v_addc_co_u32_e32 v13, vcc, v5, v13, vcc
	s_waitcnt lgkmcnt(1)
	global_store_dword v[12:13], v1, off
	s_andn2_b64 exec, exec, s[6:7]
	s_cbranch_execnz .LBB15_70
	s_branch .LBB15_66
.LBB15_71:
	s_or_b64 exec, exec, s[8:9]
	s_waitcnt lgkmcnt(1)
	v_mov_b32_e32 v1, s36
	s_waitcnt lgkmcnt(0)
	s_barrier
	ds_read_b32 v1, v1
	s_add_i32 s6, s36, s17
	v_mov_b32_e32 v2, s6
	s_andn2_b64 vcc, exec, s[12:13]
	s_waitcnt lgkmcnt(0)
	ds_write_b32 v2, v1 offset:4
	s_cbranch_vccnz .LBB15_100
; %bb.72:
	s_mov_b32 s24, s34
	s_sub_i32 s34, s52, s51
	s_add_u32 s59, s20, -4
	s_addc_u32 s60, s21, -1
	v_and_b32_e32 v1, 8, v9
	s_add_u32 s61, s30, -4
	v_cmp_eq_u32_e64 s[8:9], 0, v1
	v_lshrrev_b32_e32 v1, 8, v8
	s_addc_u32 s62, s31, -1
	v_add_u32_e32 v3, 1, v1
	s_add_u32 s63, s22, -4
	s_mov_b32 s25, 0
	v_and_b32_e32 v18, 0x1fffffe, v3
	s_addc_u32 s64, s23, -1
	s_lshl_b32 s36, s41, 3
	s_mov_b32 s14, s49
	s_mov_b32 s15, s25
	v_lshlrev_b32_e32 v16, 2, v0
	s_movk_i32 s10, 0xff
	v_lshl_add_u32 v2, v18, 8, v0
	v_cmp_ne_u32_e64 s[12:13], v3, v18
	s_add_i32 s16, s36, 0
	v_mov_b32_e32 v5, 0
	v_mov_b32_e32 v4, v0
	v_add3_u32 v3, v10, s36, v11
	s_lshl_b32 s67, s41, 5
	v_cmp_gt_i32_e32 vcc, s55, v0
	v_cmp_gt_i32_e64 s[6:7], s33, v15
	v_or_b32_e32 v17, 28, v16
	v_cmp_lt_u32_e64 s[10:11], s10, v8
	v_add_u32_e32 v1, 0x100, v0
	s_mov_b32 s51, s24
	s_mov_b32 s57, s35
	;; [unrolled: 1-line block ×3, first 2 shown]
	v_add_u32_e32 v19, s16, v16
	s_lshl_b32 s65, s34, 2
	s_lshl_b64 s[26:27], s[24:25], 8
	s_sub_i32 s66, 0, s48
	v_pk_mov_b32 v[6:7], v[4:5], v[4:5] op_sel:[0,1]
	v_mad_u64_u32 v[8:9], s[16:17], v0, s49, 0
	s_lshl_b64 s[30:31], s[14:15], 8
	v_mul_lo_u32 v20, s48, v15
	s_lshl_b32 s49, s48, 3
	v_add3_u32 v21, v3, 0, 8
	s_add_i32 s67, s67, 32
	v_lshlrev_b32_e32 v22, 2, v2
	s_mov_b32 s68, 0x4020100
	s_mov_b32 s69, s25
	s_branch .LBB15_74
.LBB15_73:                              ;   in Loop: Header=BB15_74 Depth=1
	s_or_b64 exec, exec, s[36:37]
	s_add_i32 s69, s69, s33
	s_add_i32 s25, s25, s55
	s_cmp_ge_i32 s69, s40
	v_add_u32_e32 v20, s55, v20
	s_waitcnt lgkmcnt(0)
	s_barrier
	s_cbranch_scc1 .LBB15_100
.LBB15_74:                              ; =>This Loop Header: Depth=1
                                        ;     Child Loop BB15_77 Depth 2
                                        ;     Child Loop BB15_83 Depth 2
	;; [unrolled: 1-line block ×4, first 2 shown]
                                        ;       Child Loop BB15_98 Depth 3
	s_and_saveexec_b64 s[16:17], s[0:1]
	s_cbranch_execz .LBB15_84
; %bb.75:                               ;   in Loop: Header=BB15_74 Depth=1
	s_mov_b64 s[14:15], -1
	v_mov_b32_e32 v23, v0
	v_mov_b32_e32 v3, v16
	v_pk_mov_b32 v[12:13], v[6:7], v[6:7] op_sel:[0,1]
	s_and_saveexec_b64 s[36:37], s[10:11]
	s_cbranch_execz .LBB15_81
; %bb.76:                               ;   in Loop: Header=BB15_74 Depth=1
	s_mov_b64 s[38:39], 0
	v_mov_b32_e32 v3, v18
	v_mov_b32_e32 v4, v19
	v_pk_mov_b32 v[10:11], v[0:1], v[0:1] op_sel:[0,1]
.LBB15_77:                              ;   Parent Loop BB15_74 Depth=1
                                        ; =>  This Inner Loop Header: Depth=2
	v_mul_hi_u32 v12, s24, v10
	v_mul_hi_u32 v13, s51, v11
	v_add_u32_e32 v13, v11, v13
	v_add_u32_e32 v12, v10, v12
	v_add_u32_e32 v3, -2, v3
	v_lshrrev_b32_e32 v12, s57, v12
	v_lshrrev_b32_e32 v13, s35, v13
	v_cmp_eq_u32_e64 s[14:15], 0, v3
	v_mul_lo_u32 v13, v13, s58
	v_mul_lo_u32 v12, v12, s34
	v_add_u32_e32 v11, 0x200, v11
	v_add_u32_e32 v10, 0x200, v10
	s_or_b64 s[38:39], s[14:15], s[38:39]
	v_lshl_add_u32 v12, v12, 2, v4
	v_lshl_add_u32 v13, v13, 2, v4
	v_add_u32_e32 v4, 0x800, v4
	ds_write_b32 v12, v5 offset:8
	ds_write_b32 v13, v5 offset:1032
	s_andn2_b64 exec, exec, s[38:39]
	s_cbranch_execnz .LBB15_77
; %bb.78:                               ;   in Loop: Header=BB15_74 Depth=1
	s_or_b64 exec, exec, s[38:39]
	s_mov_b64 s[14:15], 0
                                        ; implicit-def: $vgpr12_vgpr13
	s_and_saveexec_b64 s[38:39], s[12:13]
	s_xor_b64 s[38:39], exec, s[38:39]
; %bb.79:                               ;   in Loop: Header=BB15_74 Depth=1
	v_mov_b32_e32 v3, v5
	s_mov_b64 s[14:15], exec
	v_pk_mov_b32 v[12:13], v[2:3], v[2:3] op_sel:[0,1]
; %bb.80:                               ;   in Loop: Header=BB15_74 Depth=1
	s_or_b64 exec, exec, s[38:39]
	s_orn2_b64 s[14:15], s[14:15], exec
	v_mov_b32_e32 v23, v2
	v_mov_b32_e32 v3, v22
.LBB15_81:                              ;   in Loop: Header=BB15_74 Depth=1
	s_or_b64 exec, exec, s[36:37]
	s_and_b64 exec, exec, s[14:15]
	s_cbranch_execz .LBB15_84
; %bb.82:                               ;   in Loop: Header=BB15_74 Depth=1
	v_mad_u64_u32 v[10:11], s[14:15], s24, v12, 0
	v_mov_b32_e32 v12, v11
	v_mad_u64_u32 v[12:13], s[14:15], s24, v13, v[12:13]
	v_add_u32_e32 v4, s54, v3
	v_mov_b32_e32 v3, v12
	s_mov_b64 s[36:37], 0
.LBB15_83:                              ;   Parent Loop BB15_74 Depth=1
                                        ; =>  This Inner Loop Header: Depth=2
	v_mov_b32_e32 v12, s27
	v_add_co_u32_e64 v10, s[14:15], s26, v10
	v_add_u32_e32 v11, v23, v3
	v_add_u32_e32 v23, 0x100, v23
	v_addc_co_u32_e64 v3, s[14:15], v3, v12, s[14:15]
	v_lshrrev_b32_e32 v11, s35, v11
	v_cmp_le_i32_e64 s[14:15], s53, v23
	v_mad_u64_u32 v[12:13], s[38:39], s65, v11, v[4:5]
	v_add_u32_e32 v4, 0x400, v4
	s_or_b64 s[36:37], s[14:15], s[36:37]
	ds_write_b32 v12, v5
	s_andn2_b64 exec, exec, s[36:37]
	s_cbranch_execnz .LBB15_83
.LBB15_84:                              ;   in Loop: Header=BB15_74 Depth=1
	s_or_b64 exec, exec, s[16:17]
	s_waitcnt lgkmcnt(0)
	s_barrier
	s_and_saveexec_b64 s[16:17], vcc
	s_cbranch_execz .LBB15_89
; %bb.85:                               ;   in Loop: Header=BB15_74 Depth=1
	s_mov_b64 s[36:37], 0
	v_pk_mov_b32 v[10:11], v[8:9], v[8:9] op_sel:[0,1]
	v_mov_b32_e32 v3, v0
	s_branch .LBB15_87
.LBB15_86:                              ;   in Loop: Header=BB15_87 Depth=2
	s_or_b64 exec, exec, s[38:39]
	v_add_u32_e32 v3, 0x100, v3
	v_cmp_le_i32_e64 s[14:15], s55, v3
	v_mov_b32_e32 v4, s31
	s_or_b64 s[36:37], s[14:15], s[36:37]
	v_add_co_u32_e64 v10, s[14:15], s30, v10
	v_addc_co_u32_e64 v11, s[14:15], v11, v4, s[14:15]
	s_andn2_b64 exec, exec, s[36:37]
	s_cbranch_execz .LBB15_89
.LBB15_87:                              ;   Parent Loop BB15_74 Depth=1
                                        ; =>  This Inner Loop Header: Depth=2
	v_add_u32_e32 v4, v3, v11
	v_lshrrev_b32_e32 v4, s50, v4
	v_add_u32_e32 v12, s69, v4
	v_cmp_gt_i32_e64 s[14:15], s40, v12
	s_and_saveexec_b64 s[38:39], s[14:15]
	s_cbranch_execz .LBB15_86
; %bb.88:                               ;   in Loop: Header=BB15_87 Depth=2
	v_add_u32_e32 v12, s25, v3
	v_ashrrev_i32_e32 v13, 31, v12
	v_lshlrev_b64 v[12:13], 2, v[12:13]
	v_mov_b32_e32 v23, s29
	v_add_co_u32_e64 v12, s[14:15], s28, v12
	v_addc_co_u32_e64 v13, s[14:15], v23, v13, s[14:15]
	global_load_dword v12, v[12:13], off
	v_mul_lo_u32 v13, s66, v4
	v_mul_lo_u32 v4, v4, s52
	v_lshlrev_b32_e32 v4, 2, v4
	v_add3_u32 v13, v3, v13, 1
	s_waitcnt vmcnt(0)
	v_lshlrev_b32_e32 v12, 2, v12
	v_add3_u32 v4, s54, v12, v4
	ds_write_b32 v4, v13
	s_branch .LBB15_86
.LBB15_89:                              ;   in Loop: Header=BB15_74 Depth=1
	s_or_b64 exec, exec, s[16:17]
	s_waitcnt lgkmcnt(0)
	s_barrier
	s_and_saveexec_b64 s[36:37], s[2:3]
	s_cbranch_execz .LBB15_73
; %bb.90:                               ;   in Loop: Header=BB15_74 Depth=1
	s_mov_b64 s[38:39], 0
	v_mov_b32_e32 v3, v21
	v_mov_b32_e32 v4, v14
	s_branch .LBB15_94
.LBB15_91:                              ;   in Loop: Header=BB15_94 Depth=2
	s_or_b64 exec, exec, s[46:47]
.LBB15_92:                              ;   in Loop: Header=BB15_94 Depth=2
	s_or_b64 exec, exec, s[44:45]
	s_waitcnt lgkmcnt(0)
	ds_write_b32 v10, v11
.LBB15_93:                              ;   in Loop: Header=BB15_94 Depth=2
	s_or_b64 exec, exec, s[42:43]
	v_add_u32_e32 v4, 32, v4
	v_cmp_le_i32_e64 s[14:15], s41, v4
	s_or_b64 s[38:39], s[14:15], s[38:39]
	v_add_u32_e32 v3, 0x80, v3
	s_andn2_b64 exec, exec, s[38:39]
	s_cbranch_execz .LBB15_73
.LBB15_94:                              ;   Parent Loop BB15_74 Depth=1
                                        ; =>  This Loop Header: Depth=2
                                        ;       Child Loop BB15_98 Depth 3
	v_lshlrev_b64 v[10:11], 2, v[4:5]
	v_mov_b32_e32 v12, s19
	v_add_co_u32_e64 v10, s[14:15], s18, v10
	v_addc_co_u32_e64 v11, s[14:15], v12, v11, s[14:15]
	global_load_dword v10, v[10:11], off
	s_waitcnt vmcnt(0)
	v_cmp_ne_u32_e64 s[14:15], 0, v10
	s_and_saveexec_b64 s[42:43], s[14:15]
	s_cbranch_execz .LBB15_93
; %bb.95:                               ;   in Loop: Header=BB15_94 Depth=2
	v_lshl_add_u32 v10, v4, 2, 0
	ds_read_b32 v11, v10
	s_and_saveexec_b64 s[44:45], s[6:7]
	s_cbranch_execz .LBB15_92
; %bb.96:                               ;   in Loop: Header=BB15_94 Depth=2
	s_mov_b64 s[46:47], 0
	v_mov_b32_e32 v12, v3
	v_mov_b32_e32 v13, v20
	;; [unrolled: 1-line block ×3, first 2 shown]
	s_branch .LBB15_98
.LBB15_97:                              ;   in Loop: Header=BB15_98 Depth=3
	s_or_b64 exec, exec, s[16:17]
	ds_bpermute_b32 v24, v17, v24
	v_add_u32_e32 v23, 8, v23
	v_cmp_le_i32_e64 s[14:15], s33, v23
	v_add_u32_e32 v13, s49, v13
	s_or_b64 s[46:47], s[14:15], s[46:47]
	s_waitcnt lgkmcnt(0)
	v_add_u32_e32 v11, v24, v11
	v_add_u32_e32 v12, s67, v12
	s_andn2_b64 exec, exec, s[46:47]
	s_cbranch_execz .LBB15_91
.LBB15_98:                              ;   Parent Loop BB15_74 Depth=1
                                        ;     Parent Loop BB15_94 Depth=2
                                        ; =>    This Inner Loop Header: Depth=3
	ds_read_b32 v25, v12
	s_waitcnt lgkmcnt(0)
	v_cmp_ne_u32_e64 s[14:15], 0, v25
	v_cndmask_b32_e64 v24, 0, 1, s[14:15]
	s_nop 1
	v_mov_b32_dpp v24, v24 row_shr:1 row_mask:0xf bank_mask:0xf bound_ctrl:1
	v_addc_co_u32_e64 v26, s[16:17], 0, v24, s[14:15]
	s_nop 1
	v_mov_b32_dpp v26, v26 row_shr:2 row_mask:0xf bank_mask:0xf bound_ctrl:1
	v_addc_co_u32_e64 v24, s[16:17], v26, v24, s[14:15]
	s_nop 1
	v_add_u32_dpp v24, v24, v24 row_shr:4 row_mask:0xf bank_mask:0xf bound_ctrl:1
	s_nop 1
	v_add_u32_dpp v24, v24, v24 row_shr:8 row_mask:0xf bank_mask:0xf bound_ctrl:1
	s_nop 1
	v_mov_b32_dpp v26, v24 row_newbcast:7 row_mask:0xf bank_mask:0xf bound_ctrl:1
	v_cndmask_b32_e64 v26, v26, 0, s[8:9]
	v_sub_u32_e32 v24, v24, v26
	s_and_saveexec_b64 s[16:17], s[14:15]
	s_cbranch_execz .LBB15_97
; %bb.99:                               ;   in Loop: Header=BB15_98 Depth=3
	v_add_u32_e32 v26, v13, v25
	v_ashrrev_i32_e32 v27, 31, v26
	v_lshlrev_b64 v[26:27], 2, v[26:27]
	v_mov_b32_e32 v28, s62
	v_add_co_u32_e64 v26, s[14:15], s61, v26
	v_addc_co_u32_e64 v27, s[14:15], v28, v27, s[14:15]
	global_load_dword v30, v[26:27], off
	v_add_u32_e32 v26, s69, v23
	v_perm_b32 v25, v25, v26, s68
	v_add_u32_e32 v26, v24, v11
	v_ashrrev_i32_e32 v27, 31, v26
	v_lshlrev_b64 v[26:27], 2, v[26:27]
	v_mov_b32_e32 v29, s60
	v_add_co_u32_e64 v28, s[14:15], s59, v26
	v_add_u32_e32 v25, 0xff000000, v25
	v_addc_co_u32_e64 v29, s[14:15], v29, v27, s[14:15]
	global_store_dword v[28:29], v25, off
	v_mov_b32_e32 v25, s64
	v_add_co_u32_e64 v26, s[14:15], s63, v26
	v_addc_co_u32_e64 v27, s[14:15], v25, v27, s[14:15]
	s_waitcnt vmcnt(1)
	global_store_dword v[26:27], v30, off
	s_branch .LBB15_97
.LBB15_100:
	s_and_saveexec_b64 s[0:1], s[4:5]
	s_cbranch_execz .LBB15_111
; %bb.101:
	s_and_b32 s0, s40, 0xffffff
	s_lshl_b32 s1, s48, 24
	s_or_b32 s4, s1, s0
	s_mov_b32 s5, s4
	s_add_i32 s56, s56, 4
	s_mov_b64 s[2:3], 0
	s_mov_b32 s8, 0
	v_mov_b32_e32 v1, 0
	s_branch .LBB15_103
.LBB15_102:                             ;   in Loop: Header=BB15_103 Depth=1
	s_or_b64 exec, exec, s[12:13]
	v_add_u32_e32 v0, 0x100, v0
	v_cmp_le_i32_e32 vcc, s41, v0
	s_or_b64 s[2:3], vcc, s[2:3]
	s_andn2_b64 exec, exec, s[2:3]
	s_cbranch_execz .LBB15_111
.LBB15_103:                             ; =>This Loop Header: Depth=1
                                        ;     Child Loop BB15_106 Depth 2
                                        ;     Child Loop BB15_110 Depth 2
	v_lshlrev_b32_e32 v2, 2, v0
	v_add_u32_e32 v3, 0, v2
	v_add_u32_e32 v4, s56, v2
	ds_read_b32 v2, v3
	ds_read_b32 v8, v4
	s_waitcnt lgkmcnt(0)
	v_cmp_gt_i32_e32 vcc, v8, v2
	s_and_saveexec_b64 s[12:13], vcc
	s_cbranch_execz .LBB15_102
; %bb.104:                              ;   in Loop: Header=BB15_103 Depth=1
	v_sub_u32_e32 v3, v8, v2
	v_cmp_lt_u32_e32 vcc, 15, v3
	s_mov_b64 s[6:7], -1
	s_and_saveexec_b64 s[0:1], vcc
	s_cbranch_execz .LBB15_108
; %bb.105:                              ;   in Loop: Header=BB15_103 Depth=1
	v_and_b32_e32 v6, -16, v3
	s_mov_b64 s[14:15], 0
	v_mov_b32_e32 v4, v2
	v_mov_b32_e32 v7, v6
.LBB15_106:                             ;   Parent Loop BB15_103 Depth=1
                                        ; =>  This Inner Loop Header: Depth=2
	v_ashrrev_i32_e32 v5, 31, v4
	v_lshlrev_b64 v[14:15], 2, v[4:5]
	v_mov_b32_e32 v5, s21
	v_add_co_u32_e32 v16, vcc, s20, v14
	v_addc_co_u32_e32 v17, vcc, v5, v15, vcc
	s_mov_b32 s6, s4
	s_mov_b32 s7, s5
	v_pk_mov_b32 v[12:13], s[6:7], s[6:7] op_sel:[0,1]
	v_mov_b32_e32 v5, s23
	v_add_co_u32_e32 v14, vcc, s22, v14
	v_pk_mov_b32 v[10:11], s[4:5], s[4:5] op_sel:[0,1]
	v_addc_co_u32_e32 v15, vcc, v5, v15, vcc
	s_mov_b32 s10, s8
	s_mov_b32 s11, s8
	v_add_u32_e32 v7, -16, v7
	global_store_dwordx4 v[16:17], v[10:13], off
	global_store_dwordx4 v[16:17], v[10:13], off offset:16
	global_store_dwordx4 v[16:17], v[10:13], off offset:32
	;; [unrolled: 1-line block ×3, first 2 shown]
	s_mov_b32 s9, s8
	v_pk_mov_b32 v[12:13], s[10:11], s[10:11] op_sel:[0,1]
	v_cmp_eq_u32_e32 vcc, 0, v7
	v_pk_mov_b32 v[10:11], s[8:9], s[8:9] op_sel:[0,1]
	s_or_b64 s[14:15], vcc, s[14:15]
	v_add_u32_e32 v4, 16, v4
	global_store_dwordx4 v[14:15], v[10:13], off
	global_store_dwordx4 v[14:15], v[10:13], off offset:16
	global_store_dwordx4 v[14:15], v[10:13], off offset:32
	;; [unrolled: 1-line block ×3, first 2 shown]
	s_andn2_b64 exec, exec, s[14:15]
	s_cbranch_execnz .LBB15_106
; %bb.107:                              ;   in Loop: Header=BB15_103 Depth=1
	s_or_b64 exec, exec, s[14:15]
	v_cmp_ne_u32_e32 vcc, v3, v6
	v_add_u32_e32 v2, v2, v6
	s_orn2_b64 s[6:7], vcc, exec
.LBB15_108:                             ;   in Loop: Header=BB15_103 Depth=1
	s_or_b64 exec, exec, s[0:1]
	s_and_b64 exec, exec, s[6:7]
	s_cbranch_execz .LBB15_102
; %bb.109:                              ;   in Loop: Header=BB15_103 Depth=1
	v_ashrrev_i32_e32 v3, 31, v2
	v_lshlrev_b64 v[6:7], 2, v[2:3]
	v_mov_b32_e32 v3, s21
	v_add_co_u32_e32 v4, vcc, s20, v6
	v_addc_co_u32_e32 v5, vcc, v3, v7, vcc
	v_mov_b32_e32 v3, s23
	v_add_co_u32_e32 v6, vcc, s22, v6
	v_addc_co_u32_e32 v7, vcc, v3, v7, vcc
	s_mov_b64 s[6:7], 0
.LBB15_110:                             ;   Parent Loop BB15_103 Depth=1
                                        ; =>  This Inner Loop Header: Depth=2
	global_store_dword v[6:7], v1, off
	v_add_co_u32_e32 v6, vcc, 4, v6
	v_mov_b32_e32 v3, s4
	v_add_u32_e32 v2, 1, v2
	v_addc_co_u32_e32 v7, vcc, 0, v7, vcc
	global_store_dword v[4:5], v3, off
	v_cmp_ge_i32_e32 vcc, v2, v8
	v_add_co_u32_e64 v4, s[0:1], 4, v4
	s_or_b64 s[6:7], vcc, s[6:7]
	v_addc_co_u32_e64 v5, vcc, 0, v5, s[0:1]
	s_andn2_b64 exec, exec, s[6:7]
	s_cbranch_execnz .LBB15_110
	s_branch .LBB15_102
.LBB15_111:
	s_endpgm
	.section	.rodata,"a",@progbits
	.p2align	6, 0x0
	.amdhsa_kernel _ZN5aiter22opus_moe_sorting_entryINS_16MoeSortingKernelINS_19MoeSortingProblemExIifLi2ELb0ELb1ELb0ELb1ELi0EEEEENS4_5KargsEEEvT0_
		.amdhsa_group_segment_fixed_size 0
		.amdhsa_private_segment_fixed_size 0
		.amdhsa_kernarg_size 400
		.amdhsa_user_sgpr_count 6
		.amdhsa_user_sgpr_private_segment_buffer 1
		.amdhsa_user_sgpr_dispatch_ptr 0
		.amdhsa_user_sgpr_queue_ptr 0
		.amdhsa_user_sgpr_kernarg_segment_ptr 1
		.amdhsa_user_sgpr_dispatch_id 0
		.amdhsa_user_sgpr_flat_scratch_init 0
		.amdhsa_user_sgpr_kernarg_preload_length 0
		.amdhsa_user_sgpr_kernarg_preload_offset 0
		.amdhsa_user_sgpr_private_segment_size 0
		.amdhsa_uses_dynamic_stack 0
		.amdhsa_system_sgpr_private_segment_wavefront_offset 0
		.amdhsa_system_sgpr_workgroup_id_x 1
		.amdhsa_system_sgpr_workgroup_id_y 0
		.amdhsa_system_sgpr_workgroup_id_z 0
		.amdhsa_system_sgpr_workgroup_info 0
		.amdhsa_system_vgpr_workitem_id 0
		.amdhsa_next_free_vgpr 31
		.amdhsa_next_free_sgpr 70
		.amdhsa_accum_offset 32
		.amdhsa_reserve_vcc 1
		.amdhsa_reserve_flat_scratch 0
		.amdhsa_float_round_mode_32 0
		.amdhsa_float_round_mode_16_64 0
		.amdhsa_float_denorm_mode_32 3
		.amdhsa_float_denorm_mode_16_64 3
		.amdhsa_dx10_clamp 1
		.amdhsa_ieee_mode 1
		.amdhsa_fp16_overflow 0
		.amdhsa_tg_split 0
		.amdhsa_exception_fp_ieee_invalid_op 0
		.amdhsa_exception_fp_denorm_src 0
		.amdhsa_exception_fp_ieee_div_zero 0
		.amdhsa_exception_fp_ieee_overflow 0
		.amdhsa_exception_fp_ieee_underflow 0
		.amdhsa_exception_fp_ieee_inexact 0
		.amdhsa_exception_int_div_zero 0
	.end_amdhsa_kernel
	.section	.text._ZN5aiter22opus_moe_sorting_entryINS_16MoeSortingKernelINS_19MoeSortingProblemExIifLi2ELb0ELb1ELb0ELb1ELi0EEEEENS4_5KargsEEEvT0_,"axG",@progbits,_ZN5aiter22opus_moe_sorting_entryINS_16MoeSortingKernelINS_19MoeSortingProblemExIifLi2ELb0ELb1ELb0ELb1ELi0EEEEENS4_5KargsEEEvT0_,comdat
.Lfunc_end15:
	.size	_ZN5aiter22opus_moe_sorting_entryINS_16MoeSortingKernelINS_19MoeSortingProblemExIifLi2ELb0ELb1ELb0ELb1ELi0EEEEENS4_5KargsEEEvT0_, .Lfunc_end15-_ZN5aiter22opus_moe_sorting_entryINS_16MoeSortingKernelINS_19MoeSortingProblemExIifLi2ELb0ELb1ELb0ELb1ELi0EEEEENS4_5KargsEEEvT0_
                                        ; -- End function
	.section	.AMDGPU.csdata,"",@progbits
; Kernel info:
; codeLenInByte = 4872
; NumSgprs: 74
; NumVgprs: 31
; NumAgprs: 0
; TotalNumVgprs: 31
; ScratchSize: 0
; MemoryBound: 0
; FloatMode: 240
; IeeeMode: 1
; LDSByteSize: 0 bytes/workgroup (compile time only)
; SGPRBlocks: 9
; VGPRBlocks: 3
; NumSGPRsForWavesPerEU: 74
; NumVGPRsForWavesPerEU: 31
; AccumOffset: 32
; Occupancy: 8
; WaveLimiterHint : 1
; COMPUTE_PGM_RSRC2:SCRATCH_EN: 0
; COMPUTE_PGM_RSRC2:USER_SGPR: 6
; COMPUTE_PGM_RSRC2:TRAP_HANDLER: 0
; COMPUTE_PGM_RSRC2:TGID_X_EN: 1
; COMPUTE_PGM_RSRC2:TGID_Y_EN: 0
; COMPUTE_PGM_RSRC2:TGID_Z_EN: 0
; COMPUTE_PGM_RSRC2:TIDIG_COMP_CNT: 0
; COMPUTE_PGM_RSRC3_GFX90A:ACCUM_OFFSET: 7
; COMPUTE_PGM_RSRC3_GFX90A:TG_SPLIT: 0
	.section	.text._ZN5aiter22opus_moe_sorting_entryINS_16MoeSortingKernelINS_19MoeSortingProblemExIifLi1ELb0ELb1ELb0ELb1ELi0EEEEENS4_5KargsEEEvT0_,"axG",@progbits,_ZN5aiter22opus_moe_sorting_entryINS_16MoeSortingKernelINS_19MoeSortingProblemExIifLi1ELb0ELb1ELb0ELb1ELi0EEEEENS4_5KargsEEEvT0_,comdat
	.protected	_ZN5aiter22opus_moe_sorting_entryINS_16MoeSortingKernelINS_19MoeSortingProblemExIifLi1ELb0ELb1ELb0ELb1ELi0EEEEENS4_5KargsEEEvT0_ ; -- Begin function _ZN5aiter22opus_moe_sorting_entryINS_16MoeSortingKernelINS_19MoeSortingProblemExIifLi1ELb0ELb1ELb0ELb1ELi0EEEEENS4_5KargsEEEvT0_
	.globl	_ZN5aiter22opus_moe_sorting_entryINS_16MoeSortingKernelINS_19MoeSortingProblemExIifLi1ELb0ELb1ELb0ELb1ELi0EEEEENS4_5KargsEEEvT0_
	.p2align	8
	.type	_ZN5aiter22opus_moe_sorting_entryINS_16MoeSortingKernelINS_19MoeSortingProblemExIifLi1ELb0ELb1ELb0ELb1ELi0EEEEENS4_5KargsEEEvT0_,@function
_ZN5aiter22opus_moe_sorting_entryINS_16MoeSortingKernelINS_19MoeSortingProblemExIifLi1ELb0ELb1ELb0ELb1ELi0EEEEENS4_5KargsEEEvT0_: ; @_ZN5aiter22opus_moe_sorting_entryINS_16MoeSortingKernelINS_19MoeSortingProblemExIifLi1ELb0ELb1ELb0ELb1ELi0EEEEENS4_5KargsEEEvT0_
; %bb.0:
	s_load_dwordx8 s[20:27], s[4:5], 0x20
	s_load_dwordx8 s[36:43], s[4:5], 0x40
	s_cmp_eq_u32 s6, 0
	s_cbranch_scc1 .LBB16_7
; %bb.1:
	s_waitcnt lgkmcnt(0)
	s_cmp_eq_u64 s[36:37], 0
	s_mov_b64 s[2:3], 0
	s_cbranch_scc1 .LBB16_6
; %bb.2:
	s_mul_i32 s1, s42, s40
	s_ashr_i32 s7, s43, 31
	s_mul_hi_i32 s0, s42, s40
	s_mul_i32 s7, s1, s7
	s_mul_hi_u32 s8, s1, s43
	s_add_i32 s7, s8, s7
	s_mul_i32 s0, s0, s43
	s_add_i32 s8, s7, s0
	s_ashr_i32 s0, s8, 31
	s_mul_i32 s1, s1, s43
	s_lshr_b32 s0, s0, 28
	s_add_u32 s0, s1, s0
	s_addc_u32 s1, s8, 0
	v_lshl_add_u32 v1, s6, 8, v0
	s_ashr_i64 s[8:9], s[0:1], 4
	v_add_u32_e32 v2, 0xffffff00, v1
	v_mov_b32_e32 v3, 0
	s_mov_b32 s7, 0
	v_cmp_gt_i64_e32 vcc, s[8:9], v[2:3]
	s_and_saveexec_b64 s[10:11], vcc
	s_cbranch_execz .LBB16_5
; %bb.3:
	s_load_dword s0, s[4:5], 0x90
	v_lshlrev_b64 v[4:5], 4, v[2:3]
	v_mov_b32_e32 v1, s37
	v_add_co_u32_e32 v8, vcc, s36, v4
	s_waitcnt lgkmcnt(0)
	s_lshl_b32 s0, s0, 8
	s_add_i32 s6, s0, 0xffffff00
	s_lshl_b64 s[12:13], s[6:7], 4
	v_pk_mov_b32 v[6:7], v[2:3], v[2:3] op_sel:[0,1]
	v_addc_co_u32_e32 v9, vcc, v1, v5, vcc
	s_mov_b64 s[14:15], 0
	v_mov_b32_e32 v2, v3
	v_mov_b32_e32 v4, v3
	;; [unrolled: 1-line block ×5, first 2 shown]
.LBB16_4:                               ; =>This Inner Loop Header: Depth=1
	v_add_co_u32_e32 v6, vcc, s6, v6
	v_addc_co_u32_e32 v7, vcc, v7, v1, vcc
	global_store_dwordx4 v[8:9], v[2:5], off
	v_add_co_u32_e32 v8, vcc, s12, v8
	v_cmp_le_i64_e64 s[0:1], s[8:9], v[6:7]
	s_or_b64 s[14:15], s[0:1], s[14:15]
	v_addc_co_u32_e32 v9, vcc, v9, v10, vcc
	s_andn2_b64 exec, exec, s[14:15]
	s_cbranch_execnz .LBB16_4
.LBB16_5:
	s_or_b64 exec, exec, s[10:11]
.LBB16_6:
	s_andn2_b64 vcc, exec, s[2:3]
	s_cbranch_vccz .LBB16_8
	s_branch .LBB16_111
.LBB16_7:
.LBB16_8:
	s_load_dwordx8 s[44:51], s[4:5], 0x64
	s_load_dwordx4 s[28:31], s[4:5], 0x0
	s_load_dwordx2 s[18:19], s[4:5], 0x10
	s_load_dwordx2 s[34:35], s[4:5], 0x84
	v_lshrrev_b32_e32 v1, 6, v0
	s_waitcnt lgkmcnt(0)
	s_add_i32 s33, s44, -2
	s_mul_i32 s53, s33, s41
	v_readfirstlane_b32 s16, v1
	s_add_i32 s52, s41, 1
	v_cmp_gt_i32_e64 s[0:1], s53, v0
	v_xad_u32 v8, v0, -1, s53
	s_and_saveexec_b64 s[2:3], s[0:1]
	s_cbranch_execz .LBB16_18
; %bb.9:
	s_movk_i32 s6, 0xff
	s_mov_b32 s5, 0
	s_mov_b32 s4, s34
	s_sub_i32 s10, s52, s51
	v_cmp_lt_u32_e32 vcc, s6, v8
	s_mov_b64 s[8:9], 0
                                        ; implicit-def: $vgpr1
                                        ; implicit-def: $sgpr11
	s_and_saveexec_b64 s[6:7], vcc
	s_xor_b64 s[6:7], exec, s[6:7]
	s_cbranch_execnz .LBB16_12
; %bb.10:
	s_or_saveexec_b64 s[6:7], s[6:7]
	v_mov_b32_e32 v2, s11
	s_xor_b64 exec, exec, s[6:7]
	s_cbranch_execnz .LBB16_15
.LBB16_11:
	s_or_b64 exec, exec, s[6:7]
	s_and_b64 exec, exec, s[8:9]
	s_cbranch_execnz .LBB16_16
	s_branch .LBB16_18
.LBB16_12:
	v_lshrrev_b32_e32 v1, 8, v8
	v_add_u32_e32 v4, 1, v1
	s_lshl_b32 s11, s41, 3
	v_and_b32_e32 v5, 0x1fffffe, v4
	v_add_u32_e32 v1, 0x100, v0
	s_add_i32 s8, s11, 0
	s_mov_b32 s12, s4
	s_mov_b32 s13, s35
	;; [unrolled: 1-line block ×4, first 2 shown]
	v_lshl_add_u32 v6, v0, 2, s8
	s_mov_b64 s[8:9], 0
	v_mov_b32_e32 v7, 0
	v_mov_b32_e32 v9, v5
	v_pk_mov_b32 v[2:3], v[0:1], v[0:1] op_sel:[0,1]
.LBB16_13:                              ; =>This Inner Loop Header: Depth=1
	v_mul_hi_u32 v1, s4, v2
	v_mul_hi_u32 v10, s12, v3
	v_add_u32_e32 v10, v3, v10
	v_add_u32_e32 v1, v2, v1
	v_add_u32_e32 v9, -2, v9
	v_lshrrev_b32_e32 v1, s13, v1
	v_lshrrev_b32_e32 v10, s14, v10
	v_cmp_eq_u32_e32 vcc, 0, v9
	v_mul_lo_u32 v10, v10, s15
	v_mul_lo_u32 v1, v1, s10
	v_add_u32_e32 v3, 0x200, v3
	v_add_u32_e32 v2, 0x200, v2
	s_or_b64 s[8:9], vcc, s[8:9]
	v_lshl_add_u32 v1, v1, 2, v6
	v_lshl_add_u32 v10, v10, 2, v6
	v_add_u32_e32 v6, 0x800, v6
	ds_write_b32 v1, v7 offset:8
	ds_write_b32 v10, v7 offset:1032
	s_andn2_b64 exec, exec, s[8:9]
	s_cbranch_execnz .LBB16_13
; %bb.14:
	s_or_b64 exec, exec, s[8:9]
	v_cmp_ne_u32_e32 vcc, v4, v5
	v_lshl_add_u32 v1, v5, 8, v0
	s_and_b64 s[8:9], vcc, exec
	s_or_saveexec_b64 s[6:7], s[6:7]
	v_mov_b32_e32 v2, s11
	s_xor_b64 exec, exec, s[6:7]
	s_cbranch_execz .LBB16_11
.LBB16_15:
	s_lshl_b32 s11, s41, 3
	v_mov_b32_e32 v2, s11
	s_or_b64 s[8:9], s[8:9], exec
	v_mov_b32_e32 v1, v0
	s_or_b64 exec, exec, s[6:7]
	s_and_b64 exec, exec, s[8:9]
	s_cbranch_execz .LBB16_18
.LBB16_16:
	v_lshl_add_u32 v2, v1, 2, v2
	v_mad_u64_u32 v[4:5], s[6:7], v1, s4, 0
	s_lshl_b64 s[4:5], s[4:5], 8
	s_lshl_b32 s8, s10, 2
	v_add3_u32 v2, v2, 0, 8
	s_mov_b64 s[6:7], 0
	v_mov_b32_e32 v3, 0
	v_mov_b32_e32 v6, s5
.LBB16_17:                              ; =>This Inner Loop Header: Depth=1
	v_add_co_u32_e32 v4, vcc, s4, v4
	v_add_u32_e32 v7, v1, v5
	v_add_u32_e32 v1, 0x100, v1
	v_addc_co_u32_e32 v5, vcc, v5, v6, vcc
	v_lshrrev_b32_e32 v7, s35, v7
	v_cmp_le_i32_e32 vcc, s53, v1
	v_mad_u64_u32 v[10:11], s[10:11], s8, v7, v[2:3]
	v_add_u32_e32 v2, 0x400, v2
	s_or_b64 s[6:7], vcc, s[6:7]
	ds_write_b32 v10, v3
	s_andn2_b64 exec, exec, s[6:7]
	s_cbranch_execnz .LBB16_17
.LBB16_18:
	s_or_b64 exec, exec, s[2:3]
	s_lshl_b32 s2, s52, 3
	s_add_i32 s54, s2, 0
	s_cmp_gt_i32 s40, 0
	s_mul_i32 s55, s48, s33
	s_mov_b32 s5, 0
	s_cselect_b64 s[12:13], -1, 0
	s_cmp_lt_i32 s40, 1
	v_cmp_gt_i32_e32 vcc, s55, v0
	s_waitcnt lgkmcnt(0)
	s_barrier
	s_cbranch_scc1 .LBB16_26
; %bb.19:
	s_mov_b32 s4, s49
	v_mad_u64_u32 v[2:3], s[2:3], v0, s49, 0
	s_lshl_b64 s[6:7], s[4:5], 8
	v_mov_b32_e32 v5, 0
	s_mov_b32 s4, 0
	s_branch .LBB16_21
.LBB16_20:                              ;   in Loop: Header=BB16_21 Depth=1
	s_or_b64 exec, exec, s[8:9]
	s_add_i32 s4, s4, s33
	s_add_i32 s5, s5, s55
	s_cmp_ge_i32 s4, s40
	s_barrier
	s_cbranch_scc1 .LBB16_26
.LBB16_21:                              ; =>This Loop Header: Depth=1
                                        ;     Child Loop BB16_24 Depth 2
	s_and_saveexec_b64 s[8:9], vcc
	s_cbranch_execz .LBB16_20
; %bb.22:                               ;   in Loop: Header=BB16_21 Depth=1
	s_mov_b64 s[10:11], 0
	v_pk_mov_b32 v[6:7], v[2:3], v[2:3] op_sel:[0,1]
	v_mov_b32_e32 v1, v0
	s_branch .LBB16_24
.LBB16_23:                              ;   in Loop: Header=BB16_24 Depth=2
	s_or_b64 exec, exec, s[14:15]
	v_add_u32_e32 v1, 0x100, v1
	v_cmp_le_i32_e64 s[2:3], s55, v1
	v_mov_b32_e32 v4, s7
	s_or_b64 s[10:11], s[2:3], s[10:11]
	v_add_co_u32_e64 v6, s[2:3], s6, v6
	v_addc_co_u32_e64 v7, s[2:3], v7, v4, s[2:3]
	s_waitcnt lgkmcnt(0)
	s_andn2_b64 exec, exec, s[10:11]
	s_cbranch_execz .LBB16_20
.LBB16_24:                              ;   Parent Loop BB16_21 Depth=1
                                        ; =>  This Inner Loop Header: Depth=2
	v_add_u32_e32 v4, v1, v7
	v_lshrrev_b32_e32 v9, s50, v4
	v_add_u32_e32 v4, s4, v9
	v_cmp_gt_i32_e64 s[2:3], s40, v4
	s_and_saveexec_b64 s[14:15], s[2:3]
	s_cbranch_execz .LBB16_23
; %bb.25:                               ;   in Loop: Header=BB16_24 Depth=2
	v_add_u32_e32 v4, s5, v1
	v_lshlrev_b64 v[10:11], 2, v[4:5]
	v_mov_b32_e32 v4, s29
	v_add_co_u32_e64 v10, s[2:3], s28, v10
	v_addc_co_u32_e64 v11, s[2:3], v4, v11, s[2:3]
	global_load_dword v4, v[10:11], off
	v_mul_lo_u32 v9, v9, s52
	v_lshlrev_b32_e32 v9, 2, v9
	s_waitcnt vmcnt(0)
	v_lshlrev_b32_e32 v4, 2, v4
	v_add3_u32 v4, s54, v4, v9
	ds_read_b32 v9, v4
	s_waitcnt lgkmcnt(0)
	v_add_u32_e32 v9, 1, v9
	ds_write_b32 v4, v9
	s_branch .LBB16_23
.LBB16_26:
	v_cmp_eq_u32_e32 vcc, 0, v0
	s_and_saveexec_b64 s[2:3], vcc
	s_cbranch_execz .LBB16_28
; %bb.27:
	v_mov_b32_e32 v1, 0
	ds_write_b32 v1, v1
.LBB16_28:
	s_or_b64 exec, exec, s[2:3]
	v_mbcnt_lo_u32_b32 v1, -1, 0
	v_and_b32_e32 v15, 7, v0
	v_mbcnt_hi_u32_b32 v9, -1, v1
	v_lshrrev_b32_e32 v14, 3, v0
	v_mul_lo_u32 v1, s52, v15
	v_cmp_gt_i32_e64 s[2:3], s41, v14
	v_lshlrev_b32_e32 v10, 2, v1
	v_lshlrev_b32_e32 v11, 2, v14
	s_and_saveexec_b64 s[8:9], s[2:3]
	s_cbranch_execz .LBB16_36
; %bb.29:
	s_cmp_gt_i32 s44, 2
	s_cselect_b64 s[6:7], -1, 0
	s_lshl_b32 s10, s41, 3
	v_lshlrev_b32_e32 v3, 2, v9
	v_add3_u32 v4, v10, s10, v11
	s_lshl_b32 s17, s41, 5
	v_cndmask_b32_e64 v5, 0, 1, s[6:7]
	v_xor_b32_e32 v1, 4, v3
	v_xor_b32_e32 v2, 8, v3
	;; [unrolled: 1-line block ×3, first 2 shown]
	v_cmp_eq_u32_e64 s[4:5], 0, v15
	v_add3_u32 v4, v4, 0, 8
	s_add_i32 s17, s17, 32
	s_mov_b64 s[10:11], 0
	v_cmp_ne_u32_e64 s[6:7], 1, v5
	v_mov_b32_e32 v5, v14
	s_branch .LBB16_31
.LBB16_30:                              ;   in Loop: Header=BB16_31 Depth=1
	s_or_b64 exec, exec, s[14:15]
	v_add_u32_e32 v5, 32, v5
	v_cmp_le_i32_e32 vcc, s41, v5
	s_or_b64 s[10:11], vcc, s[10:11]
	v_add_u32_e32 v4, 0x80, v4
	s_andn2_b64 exec, exec, s[10:11]
	s_cbranch_execz .LBB16_36
.LBB16_31:                              ; =>This Loop Header: Depth=1
                                        ;     Child Loop BB16_33 Depth 2
	s_and_b64 vcc, exec, s[6:7]
	v_mov_b32_e32 v6, 0
	s_cbranch_vccnz .LBB16_34
; %bb.32:                               ;   in Loop: Header=BB16_31 Depth=1
	s_mov_b32 s14, 0
	v_mov_b32_e32 v6, 0
	v_mov_b32_e32 v7, v4
.LBB16_33:                              ;   Parent Loop BB16_31 Depth=1
                                        ; =>  This Inner Loop Header: Depth=2
	ds_read_b32 v12, v7
	s_add_i32 s14, s14, 8
	v_add_u32_e32 v7, s17, v7
	s_cmp_ge_i32 s14, s33
	s_waitcnt lgkmcnt(0)
	ds_bpermute_b32 v13, v1, v12
	s_waitcnt lgkmcnt(0)
	v_add_u32_e32 v12, v13, v12
	ds_bpermute_b32 v13, v2, v12
	s_waitcnt lgkmcnt(0)
	v_add_u32_e32 v12, v13, v12
	ds_bpermute_b32 v13, v3, v12
	s_waitcnt lgkmcnt(0)
	v_add3_u32 v6, v12, v6, v13
	s_cbranch_scc0 .LBB16_33
.LBB16_34:                              ;   in Loop: Header=BB16_31 Depth=1
	s_and_saveexec_b64 s[14:15], s[4:5]
	s_cbranch_execz .LBB16_30
; %bb.35:                               ;   in Loop: Header=BB16_31 Depth=1
	v_lshl_add_u32 v7, v5, 2, 0
	ds_write_b32 v7, v6 offset:4
	s_branch .LBB16_30
.LBB16_36:
	s_or_b64 exec, exec, s[8:9]
	s_lshl_b32 s17, s41, 2
	s_add_i32 s36, s17, 0
	v_mov_b32_e32 v1, 0
	v_mov_b32_e32 v2, s36
	v_cmp_gt_i32_e64 s[4:5], s41, v0
	ds_write_b32 v2, v1 offset:4
	s_and_saveexec_b64 s[6:7], s[4:5]
	s_cbranch_execz .LBB16_46
; %bb.37:
	v_xad_u32 v1, v0, -1, s41
	s_movk_i32 s8, 0xff
	v_cmp_lt_u32_e32 vcc, s8, v1
	s_mov_b64 s[10:11], 0
                                        ; implicit-def: $vgpr2
	s_and_saveexec_b64 s[8:9], vcc
	s_xor_b64 s[8:9], exec, s[8:9]
	s_cbranch_execnz .LBB16_40
; %bb.38:
	s_or_saveexec_b64 s[8:9], s[8:9]
	v_mov_b32_e32 v1, s17
	s_xor_b64 exec, exec, s[8:9]
	s_cbranch_execnz .LBB16_43
.LBB16_39:
	s_or_b64 exec, exec, s[8:9]
	s_and_b64 exec, exec, s[10:11]
	s_cbranch_execnz .LBB16_44
	s_branch .LBB16_46
.LBB16_40:
	v_lshrrev_b32_e32 v1, 8, v1
	v_add_u32_e32 v6, 1, v1
	v_and_b32_e32 v7, 0x1fffffe, v6
	v_add_u32_e32 v1, 0x100, v0
	v_lshlrev_b32_e32 v2, 2, v0
	v_add3_u32 v12, s36, v2, 8
	v_mov_b32_e32 v13, s19
	v_mov_b32_e32 v3, 0
	v_mov_b32_e32 v16, v7
	v_pk_mov_b32 v[4:5], v[0:1], v[0:1] op_sel:[0,1]
.LBB16_41:                              ; =>This Inner Loop Header: Depth=1
	v_mov_b32_e32 v2, v4
	v_lshlrev_b64 v[18:19], 2, v[2:3]
	v_mov_b32_e32 v2, v5
	v_add_co_u32_e32 v18, vcc, s18, v18
	v_addc_co_u32_e32 v19, vcc, v13, v19, vcc
	v_lshlrev_b64 v[20:21], 2, v[2:3]
	v_add_co_u32_e32 v20, vcc, s18, v20
	v_addc_co_u32_e32 v21, vcc, v13, v21, vcc
	global_load_dword v1, v[18:19], off
	global_load_dword v2, v[20:21], off
	v_add_u32_e32 v16, -2, v16
	v_cmp_eq_u32_e32 vcc, 0, v16
	v_add_u32_e32 v4, 0x200, v4
	v_add_u32_e32 v5, 0x200, v5
	s_or_b64 s[10:11], vcc, s[10:11]
	s_waitcnt vmcnt(0)
	ds_write2st64_b32 v12, v1, v2 offset1:4
	v_add_u32_e32 v12, 0x800, v12
	s_andn2_b64 exec, exec, s[10:11]
	s_cbranch_execnz .LBB16_41
; %bb.42:
	s_or_b64 exec, exec, s[10:11]
	v_cmp_ne_u32_e32 vcc, v6, v7
	v_lshl_add_u32 v2, v7, 8, v0
	s_and_b64 s[10:11], vcc, exec
	s_or_saveexec_b64 s[8:9], s[8:9]
	v_mov_b32_e32 v1, s17
	s_xor_b64 exec, exec, s[8:9]
	s_cbranch_execz .LBB16_39
.LBB16_43:
	v_mov_b32_e32 v1, s17
	s_or_b64 s[10:11], s[10:11], exec
	v_mov_b32_e32 v2, v0
	s_or_b64 exec, exec, s[8:9]
	s_and_b64 exec, exec, s[10:11]
	s_cbranch_execz .LBB16_46
.LBB16_44:
	v_mov_b32_e32 v3, 0
	v_lshlrev_b64 v[4:5], 2, v[2:3]
	v_lshl_add_u32 v1, v2, 2, v1
	v_mov_b32_e32 v3, s19
	v_add_co_u32_e32 v4, vcc, s18, v4
	v_add3_u32 v1, v1, 0, 8
	v_addc_co_u32_e32 v5, vcc, v3, v5, vcc
	s_mov_b64 s[8:9], 0
.LBB16_45:                              ; =>This Inner Loop Header: Depth=1
	global_load_dword v3, v[4:5], off
	v_add_co_u32_e32 v4, vcc, 0x400, v4
	v_add_u32_e32 v2, 0x100, v2
	v_addc_co_u32_e32 v5, vcc, 0, v5, vcc
	v_cmp_le_i32_e32 vcc, s41, v2
	s_or_b64 s[8:9], vcc, s[8:9]
	s_waitcnt vmcnt(0)
	ds_write_b32 v1, v3
	v_add_u32_e32 v1, 0x400, v1
	s_andn2_b64 exec, exec, s[8:9]
	s_cbranch_execnz .LBB16_45
.LBB16_46:
	s_or_b64 exec, exec, s[6:7]
	s_add_i32 s56, s36, 4
	s_cmp_lg_u32 s16, 0
	s_waitcnt lgkmcnt(0)
	s_barrier
	s_cbranch_scc1 .LBB16_57
; %bb.47:
	s_mov_b32 s16, 0
	s_cmp_lt_i32 s41, 1
	v_mov_b32_e32 v2, 0
	s_cbranch_scc1 .LBB16_54
; %bb.48:
	v_lshlrev_b32_e32 v2, 2, v9
	v_and_b32_e32 v3, 0xc0, v2
	v_cmp_eq_u32_e32 vcc, 0, v9
	s_add_i32 s37, s45, -1
	v_add_u32_e32 v1, -4, v3
	v_cmp_lt_u32_e64 s[6:7], 15, v9
	v_add_u32_e32 v3, 0xffffffbc, v3
	v_cmp_lt_u32_e64 s[8:9], 31, v9
	v_add_u32_e32 v4, 0, v2
	s_branch .LBB16_50
.LBB16_49:                              ;   in Loop: Header=BB16_50 Depth=1
	s_or_b64 exec, exec, s[14:15]
	s_add_i32 s16, s16, 64
	s_cmp_lt_i32 s16, s41
	v_add_u32_e32 v4, 0x100, v4
	s_waitcnt lgkmcnt(0)
	s_cbranch_scc0 .LBB16_54
.LBB16_50:                              ; =>This Inner Loop Header: Depth=1
	ds_read_b32 v7, v4 offset:4
	v_mov_b32_e32 v2, s16
	v_add_u32_e32 v5, s17, v4
	ds_read_b32 v6, v5 offset:8
	v_cndmask_b32_e32 v2, 0, v2, vcc
	s_waitcnt lgkmcnt(1)
	v_add_u32_e32 v7, s37, v7
	v_lshlrev_b32_e32 v2, 2, v2
	v_mul_hi_u32 v13, v7, s46
	v_add_u32_e32 v12, 0, v2
	v_add_u32_e32 v7, v7, v13
	v_lshrrev_b32_e32 v13, s47, v7
	v_add_u32_e32 v2, s56, v2
	ds_read_b32 v12, v12
	ds_read_b32 v7, v2
	v_mul_lo_u32 v2, v13, s45
	s_waitcnt lgkmcnt(2)
	v_cmp_ne_u32_e64 s[10:11], 0, v6
	v_cndmask_b32_e64 v2, 0, v2, s[10:11]
	s_waitcnt lgkmcnt(1)
	v_add_u32_e32 v2, v2, v12
	v_add_u32_e32 v13, s16, v9
	v_cmp_gt_i32_e64 s[10:11], s41, v13
	v_add_u32_dpp v2, v2, v2 row_shr:1 row_mask:0xf bank_mask:0xf bound_ctrl:1
	s_nop 1
	v_add_u32_dpp v2, v2, v2 row_shr:2 row_mask:0xf bank_mask:0xf bound_ctrl:1
	s_nop 1
	;; [unrolled: 2-line block ×3, first 2 shown]
	v_add_u32_dpp v2, v2, v2 row_shr:8 row_mask:0xf bank_mask:0xf bound_ctrl:1
	ds_bpermute_b32 v12, v1, v2
	s_waitcnt lgkmcnt(0)
	v_cndmask_b32_e64 v12, 0, v12, s[6:7]
	v_add_u32_e32 v2, v2, v12
	ds_bpermute_b32 v12, v3, v2
	s_waitcnt lgkmcnt(0)
	v_cndmask_b32_e64 v12, 0, v12, s[8:9]
	v_add_u32_e32 v2, v2, v12
	s_and_saveexec_b64 s[14:15], s[10:11]
	s_cbranch_execz .LBB16_52
; %bb.51:                               ;   in Loop: Header=BB16_50 Depth=1
	ds_write_b32 v4, v2 offset:4
.LBB16_52:                              ;   in Loop: Header=BB16_50 Depth=1
	s_or_b64 exec, exec, s[14:15]
	v_add_u32_e32 v6, v6, v7
	s_nop 1
	v_add_u32_dpp v6, v6, v6 row_shr:1 row_mask:0xf bank_mask:0xf bound_ctrl:1
	s_nop 1
	v_add_u32_dpp v6, v6, v6 row_shr:2 row_mask:0xf bank_mask:0xf bound_ctrl:1
	;; [unrolled: 2-line block ×4, first 2 shown]
	ds_bpermute_b32 v7, v1, v6
	s_waitcnt lgkmcnt(0)
	v_cndmask_b32_e64 v7, 0, v7, s[6:7]
	v_add_u32_e32 v6, v7, v6
	ds_bpermute_b32 v7, v3, v6
	s_and_saveexec_b64 s[14:15], s[10:11]
	s_cbranch_execz .LBB16_49
; %bb.53:                               ;   in Loop: Header=BB16_50 Depth=1
	s_waitcnt lgkmcnt(0)
	v_cndmask_b32_e64 v7, 0, v7, s[8:9]
	v_add_u32_e32 v6, v7, v6
	ds_write_b32 v5, v6 offset:8
	s_branch .LBB16_49
.LBB16_54:
	v_add_u32_e32 v1, s16, v9
	v_subrev_u32_e32 v1, 63, v1
	v_cmp_eq_u32_e32 vcc, s41, v1
	s_and_saveexec_b64 s[6:7], vcc
	s_cbranch_execz .LBB16_56
; %bb.55:
	v_mov_b32_e32 v1, 0
	v_mov_b32_e32 v3, s40
	global_store_dwordx2 v1, v[2:3], s[26:27]
.LBB16_56:
	s_or_b64 exec, exec, s[6:7]
.LBB16_57:
	s_cmp_eq_u64 s[38:39], 0
	s_barrier
	s_cbranch_scc1 .LBB16_64
; %bb.58:
	s_mul_i32 s14, s48, s40
	v_cmp_gt_i32_e32 vcc, s14, v0
	s_and_saveexec_b64 s[8:9], vcc
	s_cbranch_execz .LBB16_63
; %bb.59:
	v_lshlrev_b32_e32 v1, 2, v0
	v_mov_b32_e32 v3, s29
	v_add_co_u32_e32 v2, vcc, s28, v1
	v_addc_co_u32_e32 v3, vcc, 0, v3, vcc
	v_mov_b32_e32 v5, s39
	v_add_co_u32_e32 v4, vcc, s38, v1
	v_addc_co_u32_e32 v5, vcc, 0, v5, vcc
	s_mov_b64 s[10:11], 0
	v_mov_b32_e32 v1, s19
	v_mov_b32_e32 v12, v0
	s_branch .LBB16_61
.LBB16_60:                              ;   in Loop: Header=BB16_61 Depth=1
	s_or_b64 exec, exec, s[6:7]
	v_add_co_u32_e32 v2, vcc, 0x400, v2
	v_add_u32_e32 v12, 0x100, v12
	v_addc_co_u32_e32 v3, vcc, 0, v3, vcc
	s_waitcnt lgkmcnt(0)
	global_store_dword v[4:5], v7, off
	v_add_co_u32_e32 v4, vcc, 0x400, v4
	v_cmp_le_i32_e64 s[6:7], s14, v12
	s_or_b64 s[10:11], s[6:7], s[10:11]
	v_addc_co_u32_e32 v5, vcc, 0, v5, vcc
	s_andn2_b64 exec, exec, s[10:11]
	s_cbranch_execz .LBB16_63
.LBB16_61:                              ; =>This Inner Loop Header: Depth=1
	global_load_dword v6, v[2:3], off
	s_waitcnt vmcnt(0)
	v_ashrrev_i32_e32 v7, 31, v6
	v_lshlrev_b64 v[16:17], 2, v[6:7]
	v_add_co_u32_e32 v16, vcc, s18, v16
	v_addc_co_u32_e32 v17, vcc, v1, v17, vcc
	global_load_dword v7, v[16:17], off
	s_waitcnt vmcnt(0)
	v_cmp_ne_u32_e32 vcc, 0, v7
	v_mov_b32_e32 v7, -1
	s_and_saveexec_b64 s[6:7], vcc
	s_cbranch_execz .LBB16_60
; %bb.62:                               ;   in Loop: Header=BB16_61 Depth=1
	v_lshl_add_u32 v6, v6, 2, s56
	ds_read_b32 v7, v6
	s_branch .LBB16_60
.LBB16_63:
	s_or_b64 exec, exec, s[8:9]
	s_barrier
.LBB16_64:
	s_and_saveexec_b64 s[8:9], s[4:5]
	s_cbranch_execz .LBB16_71
; %bb.65:
	s_mov_b64 s[10:11], 0
	v_mov_b32_e32 v3, 0
	v_mov_b32_e32 v4, v0
	s_branch .LBB16_67
.LBB16_66:                              ;   in Loop: Header=BB16_67 Depth=1
	s_or_b64 exec, exec, s[14:15]
	v_add_u32_e32 v4, 0x100, v4
	v_cmp_le_i32_e32 vcc, s41, v4
	s_or_b64 s[10:11], vcc, s[10:11]
	s_andn2_b64 exec, exec, s[10:11]
	s_cbranch_execz .LBB16_71
.LBB16_67:                              ; =>This Loop Header: Depth=1
                                        ;     Child Loop BB16_70 Depth 2
	s_waitcnt lgkmcnt(1)
	v_lshlrev_b32_e32 v1, 2, v4
	v_add_u32_e32 v2, 0, v1
	ds_read2_b32 v[6:7], v2 offset1:1
	v_add_u32_e32 v2, s56, v1
	ds_read_b32 v1, v2
	s_waitcnt lgkmcnt(1)
	v_cmp_ne_u32_e32 vcc, v6, v7
	ds_write_b32 v2, v6
	s_and_saveexec_b64 s[14:15], vcc
	s_cbranch_execz .LBB16_66
; %bb.68:                               ;   in Loop: Header=BB16_67 Depth=1
	v_mov_b32_e32 v5, v3
	v_lshlrev_b64 v[12:13], 2, v[4:5]
	v_mov_b32_e32 v2, s19
	v_add_co_u32_e32 v12, vcc, s18, v12
	v_addc_co_u32_e32 v13, vcc, v2, v13, vcc
	global_load_dword v2, v[12:13], off
	v_cmp_lt_i32_e64 s[6:7], v6, v7
	s_waitcnt vmcnt(0)
	v_cmp_ne_u32_e32 vcc, 0, v2
	s_and_b64 s[6:7], s[6:7], vcc
	s_and_b64 exec, exec, s[6:7]
	s_cbranch_execz .LBB16_66
; %bb.69:                               ;   in Loop: Header=BB16_67 Depth=1
	s_mov_b64 s[6:7], 0
.LBB16_70:                              ;   Parent Loop BB16_67 Depth=1
                                        ; =>  This Inner Loop Header: Depth=2
	v_mul_hi_u32 v2, s46, v6
	v_add_u32_e32 v2, v6, v2
	v_add_u32_e32 v6, s45, v6
	v_lshrrev_b32_e32 v2, s47, v2
	v_cmp_ge_i32_e32 vcc, v6, v7
	v_lshlrev_b64 v[12:13], 2, v[2:3]
	v_mov_b32_e32 v5, s25
	s_or_b64 s[6:7], vcc, s[6:7]
	v_add_co_u32_e32 v12, vcc, s24, v12
	v_addc_co_u32_e32 v13, vcc, v5, v13, vcc
	s_waitcnt lgkmcnt(1)
	global_store_dword v[12:13], v1, off
	s_andn2_b64 exec, exec, s[6:7]
	s_cbranch_execnz .LBB16_70
	s_branch .LBB16_66
.LBB16_71:
	s_or_b64 exec, exec, s[8:9]
	s_waitcnt lgkmcnt(1)
	v_mov_b32_e32 v1, s36
	s_waitcnt lgkmcnt(0)
	s_barrier
	ds_read_b32 v1, v1
	s_add_i32 s6, s36, s17
	v_mov_b32_e32 v2, s6
	s_andn2_b64 vcc, exec, s[12:13]
	s_waitcnt lgkmcnt(0)
	ds_write_b32 v2, v1 offset:4
	s_cbranch_vccnz .LBB16_100
; %bb.72:
	s_mov_b32 s24, s34
	s_sub_i32 s34, s52, s51
	s_add_u32 s59, s20, -4
	s_addc_u32 s60, s21, -1
	v_and_b32_e32 v1, 8, v9
	s_add_u32 s61, s30, -4
	v_cmp_eq_u32_e64 s[8:9], 0, v1
	v_lshrrev_b32_e32 v1, 8, v8
	s_addc_u32 s62, s31, -1
	v_add_u32_e32 v3, 1, v1
	s_add_u32 s63, s22, -4
	s_mov_b32 s25, 0
	v_and_b32_e32 v18, 0x1fffffe, v3
	s_addc_u32 s64, s23, -1
	s_lshl_b32 s36, s41, 3
	s_mov_b32 s14, s49
	s_mov_b32 s15, s25
	v_lshlrev_b32_e32 v16, 2, v0
	s_movk_i32 s10, 0xff
	v_lshl_add_u32 v2, v18, 8, v0
	v_cmp_ne_u32_e64 s[12:13], v3, v18
	s_add_i32 s16, s36, 0
	v_mov_b32_e32 v5, 0
	v_mov_b32_e32 v4, v0
	v_add3_u32 v3, v10, s36, v11
	s_lshl_b32 s67, s41, 5
	v_cmp_gt_i32_e32 vcc, s55, v0
	v_cmp_gt_i32_e64 s[6:7], s33, v15
	v_or_b32_e32 v17, 28, v16
	v_cmp_lt_u32_e64 s[10:11], s10, v8
	v_add_u32_e32 v1, 0x100, v0
	s_mov_b32 s51, s24
	s_mov_b32 s57, s35
	;; [unrolled: 1-line block ×3, first 2 shown]
	v_add_u32_e32 v19, s16, v16
	s_lshl_b32 s65, s34, 2
	s_lshl_b64 s[26:27], s[24:25], 8
	s_sub_i32 s66, 0, s48
	v_pk_mov_b32 v[6:7], v[4:5], v[4:5] op_sel:[0,1]
	v_mad_u64_u32 v[8:9], s[16:17], v0, s49, 0
	s_lshl_b64 s[30:31], s[14:15], 8
	v_mul_lo_u32 v20, s48, v15
	s_lshl_b32 s49, s48, 3
	v_add3_u32 v21, v3, 0, 8
	s_add_i32 s67, s67, 32
	v_lshlrev_b32_e32 v22, 2, v2
	s_mov_b32 s68, 0x4020100
	s_mov_b32 s69, s25
	s_branch .LBB16_74
.LBB16_73:                              ;   in Loop: Header=BB16_74 Depth=1
	s_or_b64 exec, exec, s[36:37]
	s_add_i32 s69, s69, s33
	s_add_i32 s25, s25, s55
	s_cmp_ge_i32 s69, s40
	v_add_u32_e32 v20, s55, v20
	s_waitcnt lgkmcnt(0)
	s_barrier
	s_cbranch_scc1 .LBB16_100
.LBB16_74:                              ; =>This Loop Header: Depth=1
                                        ;     Child Loop BB16_77 Depth 2
                                        ;     Child Loop BB16_83 Depth 2
	;; [unrolled: 1-line block ×4, first 2 shown]
                                        ;       Child Loop BB16_98 Depth 3
	s_and_saveexec_b64 s[16:17], s[0:1]
	s_cbranch_execz .LBB16_84
; %bb.75:                               ;   in Loop: Header=BB16_74 Depth=1
	s_mov_b64 s[14:15], -1
	v_mov_b32_e32 v23, v0
	v_mov_b32_e32 v3, v16
	v_pk_mov_b32 v[12:13], v[6:7], v[6:7] op_sel:[0,1]
	s_and_saveexec_b64 s[36:37], s[10:11]
	s_cbranch_execz .LBB16_81
; %bb.76:                               ;   in Loop: Header=BB16_74 Depth=1
	s_mov_b64 s[38:39], 0
	v_mov_b32_e32 v3, v18
	v_mov_b32_e32 v4, v19
	v_pk_mov_b32 v[10:11], v[0:1], v[0:1] op_sel:[0,1]
.LBB16_77:                              ;   Parent Loop BB16_74 Depth=1
                                        ; =>  This Inner Loop Header: Depth=2
	v_mul_hi_u32 v12, s24, v10
	v_mul_hi_u32 v13, s51, v11
	v_add_u32_e32 v13, v11, v13
	v_add_u32_e32 v12, v10, v12
	v_add_u32_e32 v3, -2, v3
	v_lshrrev_b32_e32 v12, s57, v12
	v_lshrrev_b32_e32 v13, s35, v13
	v_cmp_eq_u32_e64 s[14:15], 0, v3
	v_mul_lo_u32 v13, v13, s58
	v_mul_lo_u32 v12, v12, s34
	v_add_u32_e32 v11, 0x200, v11
	v_add_u32_e32 v10, 0x200, v10
	s_or_b64 s[38:39], s[14:15], s[38:39]
	v_lshl_add_u32 v12, v12, 2, v4
	v_lshl_add_u32 v13, v13, 2, v4
	v_add_u32_e32 v4, 0x800, v4
	ds_write_b32 v12, v5 offset:8
	ds_write_b32 v13, v5 offset:1032
	s_andn2_b64 exec, exec, s[38:39]
	s_cbranch_execnz .LBB16_77
; %bb.78:                               ;   in Loop: Header=BB16_74 Depth=1
	s_or_b64 exec, exec, s[38:39]
	s_mov_b64 s[14:15], 0
                                        ; implicit-def: $vgpr12_vgpr13
	s_and_saveexec_b64 s[38:39], s[12:13]
	s_xor_b64 s[38:39], exec, s[38:39]
; %bb.79:                               ;   in Loop: Header=BB16_74 Depth=1
	v_mov_b32_e32 v3, v5
	s_mov_b64 s[14:15], exec
	v_pk_mov_b32 v[12:13], v[2:3], v[2:3] op_sel:[0,1]
; %bb.80:                               ;   in Loop: Header=BB16_74 Depth=1
	s_or_b64 exec, exec, s[38:39]
	s_orn2_b64 s[14:15], s[14:15], exec
	v_mov_b32_e32 v23, v2
	v_mov_b32_e32 v3, v22
.LBB16_81:                              ;   in Loop: Header=BB16_74 Depth=1
	s_or_b64 exec, exec, s[36:37]
	s_and_b64 exec, exec, s[14:15]
	s_cbranch_execz .LBB16_84
; %bb.82:                               ;   in Loop: Header=BB16_74 Depth=1
	v_mad_u64_u32 v[10:11], s[14:15], s24, v12, 0
	v_mov_b32_e32 v12, v11
	v_mad_u64_u32 v[12:13], s[14:15], s24, v13, v[12:13]
	v_add_u32_e32 v4, s54, v3
	v_mov_b32_e32 v3, v12
	s_mov_b64 s[36:37], 0
.LBB16_83:                              ;   Parent Loop BB16_74 Depth=1
                                        ; =>  This Inner Loop Header: Depth=2
	v_mov_b32_e32 v12, s27
	v_add_co_u32_e64 v10, s[14:15], s26, v10
	v_add_u32_e32 v11, v23, v3
	v_add_u32_e32 v23, 0x100, v23
	v_addc_co_u32_e64 v3, s[14:15], v3, v12, s[14:15]
	v_lshrrev_b32_e32 v11, s35, v11
	v_cmp_le_i32_e64 s[14:15], s53, v23
	v_mad_u64_u32 v[12:13], s[38:39], s65, v11, v[4:5]
	v_add_u32_e32 v4, 0x400, v4
	s_or_b64 s[36:37], s[14:15], s[36:37]
	ds_write_b32 v12, v5
	s_andn2_b64 exec, exec, s[36:37]
	s_cbranch_execnz .LBB16_83
.LBB16_84:                              ;   in Loop: Header=BB16_74 Depth=1
	s_or_b64 exec, exec, s[16:17]
	s_waitcnt lgkmcnt(0)
	s_barrier
	s_and_saveexec_b64 s[16:17], vcc
	s_cbranch_execz .LBB16_89
; %bb.85:                               ;   in Loop: Header=BB16_74 Depth=1
	s_mov_b64 s[36:37], 0
	v_pk_mov_b32 v[10:11], v[8:9], v[8:9] op_sel:[0,1]
	v_mov_b32_e32 v3, v0
	s_branch .LBB16_87
.LBB16_86:                              ;   in Loop: Header=BB16_87 Depth=2
	s_or_b64 exec, exec, s[38:39]
	v_add_u32_e32 v3, 0x100, v3
	v_cmp_le_i32_e64 s[14:15], s55, v3
	v_mov_b32_e32 v4, s31
	s_or_b64 s[36:37], s[14:15], s[36:37]
	v_add_co_u32_e64 v10, s[14:15], s30, v10
	v_addc_co_u32_e64 v11, s[14:15], v11, v4, s[14:15]
	s_andn2_b64 exec, exec, s[36:37]
	s_cbranch_execz .LBB16_89
.LBB16_87:                              ;   Parent Loop BB16_74 Depth=1
                                        ; =>  This Inner Loop Header: Depth=2
	v_add_u32_e32 v4, v3, v11
	v_lshrrev_b32_e32 v4, s50, v4
	v_add_u32_e32 v12, s69, v4
	v_cmp_gt_i32_e64 s[14:15], s40, v12
	s_and_saveexec_b64 s[38:39], s[14:15]
	s_cbranch_execz .LBB16_86
; %bb.88:                               ;   in Loop: Header=BB16_87 Depth=2
	v_add_u32_e32 v12, s25, v3
	v_ashrrev_i32_e32 v13, 31, v12
	v_lshlrev_b64 v[12:13], 2, v[12:13]
	v_mov_b32_e32 v23, s29
	v_add_co_u32_e64 v12, s[14:15], s28, v12
	v_addc_co_u32_e64 v13, s[14:15], v23, v13, s[14:15]
	global_load_dword v12, v[12:13], off
	v_mul_lo_u32 v13, s66, v4
	v_mul_lo_u32 v4, v4, s52
	v_lshlrev_b32_e32 v4, 2, v4
	v_add3_u32 v13, v3, v13, 1
	s_waitcnt vmcnt(0)
	v_lshlrev_b32_e32 v12, 2, v12
	v_add3_u32 v4, s54, v12, v4
	ds_write_b32 v4, v13
	s_branch .LBB16_86
.LBB16_89:                              ;   in Loop: Header=BB16_74 Depth=1
	s_or_b64 exec, exec, s[16:17]
	s_waitcnt lgkmcnt(0)
	s_barrier
	s_and_saveexec_b64 s[36:37], s[2:3]
	s_cbranch_execz .LBB16_73
; %bb.90:                               ;   in Loop: Header=BB16_74 Depth=1
	s_mov_b64 s[38:39], 0
	v_mov_b32_e32 v3, v21
	v_mov_b32_e32 v4, v14
	s_branch .LBB16_94
.LBB16_91:                              ;   in Loop: Header=BB16_94 Depth=2
	s_or_b64 exec, exec, s[46:47]
.LBB16_92:                              ;   in Loop: Header=BB16_94 Depth=2
	s_or_b64 exec, exec, s[44:45]
	s_waitcnt lgkmcnt(0)
	ds_write_b32 v10, v11
.LBB16_93:                              ;   in Loop: Header=BB16_94 Depth=2
	s_or_b64 exec, exec, s[42:43]
	v_add_u32_e32 v4, 32, v4
	v_cmp_le_i32_e64 s[14:15], s41, v4
	s_or_b64 s[38:39], s[14:15], s[38:39]
	v_add_u32_e32 v3, 0x80, v3
	s_andn2_b64 exec, exec, s[38:39]
	s_cbranch_execz .LBB16_73
.LBB16_94:                              ;   Parent Loop BB16_74 Depth=1
                                        ; =>  This Loop Header: Depth=2
                                        ;       Child Loop BB16_98 Depth 3
	v_lshlrev_b64 v[10:11], 2, v[4:5]
	v_mov_b32_e32 v12, s19
	v_add_co_u32_e64 v10, s[14:15], s18, v10
	v_addc_co_u32_e64 v11, s[14:15], v12, v11, s[14:15]
	global_load_dword v10, v[10:11], off
	s_waitcnt vmcnt(0)
	v_cmp_ne_u32_e64 s[14:15], 0, v10
	s_and_saveexec_b64 s[42:43], s[14:15]
	s_cbranch_execz .LBB16_93
; %bb.95:                               ;   in Loop: Header=BB16_94 Depth=2
	v_lshl_add_u32 v10, v4, 2, 0
	ds_read_b32 v11, v10
	s_and_saveexec_b64 s[44:45], s[6:7]
	s_cbranch_execz .LBB16_92
; %bb.96:                               ;   in Loop: Header=BB16_94 Depth=2
	s_mov_b64 s[46:47], 0
	v_mov_b32_e32 v12, v3
	v_mov_b32_e32 v13, v20
	;; [unrolled: 1-line block ×3, first 2 shown]
	s_branch .LBB16_98
.LBB16_97:                              ;   in Loop: Header=BB16_98 Depth=3
	s_or_b64 exec, exec, s[16:17]
	ds_bpermute_b32 v24, v17, v24
	v_add_u32_e32 v23, 8, v23
	v_cmp_le_i32_e64 s[14:15], s33, v23
	v_add_u32_e32 v13, s49, v13
	s_or_b64 s[46:47], s[14:15], s[46:47]
	s_waitcnt lgkmcnt(0)
	v_add_u32_e32 v11, v24, v11
	v_add_u32_e32 v12, s67, v12
	s_andn2_b64 exec, exec, s[46:47]
	s_cbranch_execz .LBB16_91
.LBB16_98:                              ;   Parent Loop BB16_74 Depth=1
                                        ;     Parent Loop BB16_94 Depth=2
                                        ; =>    This Inner Loop Header: Depth=3
	ds_read_b32 v25, v12
	s_waitcnt lgkmcnt(0)
	v_cmp_ne_u32_e64 s[14:15], 0, v25
	v_cndmask_b32_e64 v24, 0, 1, s[14:15]
	s_nop 1
	v_mov_b32_dpp v24, v24 row_shr:1 row_mask:0xf bank_mask:0xf bound_ctrl:1
	v_addc_co_u32_e64 v26, s[16:17], 0, v24, s[14:15]
	s_nop 1
	v_mov_b32_dpp v26, v26 row_shr:2 row_mask:0xf bank_mask:0xf bound_ctrl:1
	v_addc_co_u32_e64 v24, s[16:17], v26, v24, s[14:15]
	s_nop 1
	v_add_u32_dpp v24, v24, v24 row_shr:4 row_mask:0xf bank_mask:0xf bound_ctrl:1
	s_nop 1
	v_add_u32_dpp v24, v24, v24 row_shr:8 row_mask:0xf bank_mask:0xf bound_ctrl:1
	s_nop 1
	v_mov_b32_dpp v26, v24 row_newbcast:7 row_mask:0xf bank_mask:0xf bound_ctrl:1
	v_cndmask_b32_e64 v26, v26, 0, s[8:9]
	v_sub_u32_e32 v24, v24, v26
	s_and_saveexec_b64 s[16:17], s[14:15]
	s_cbranch_execz .LBB16_97
; %bb.99:                               ;   in Loop: Header=BB16_98 Depth=3
	v_add_u32_e32 v26, v13, v25
	v_ashrrev_i32_e32 v27, 31, v26
	v_lshlrev_b64 v[26:27], 2, v[26:27]
	v_mov_b32_e32 v28, s62
	v_add_co_u32_e64 v26, s[14:15], s61, v26
	v_addc_co_u32_e64 v27, s[14:15], v28, v27, s[14:15]
	global_load_dword v30, v[26:27], off
	v_add_u32_e32 v26, s69, v23
	v_perm_b32 v25, v25, v26, s68
	v_add_u32_e32 v26, v24, v11
	v_ashrrev_i32_e32 v27, 31, v26
	v_lshlrev_b64 v[26:27], 2, v[26:27]
	v_mov_b32_e32 v29, s60
	v_add_co_u32_e64 v28, s[14:15], s59, v26
	v_add_u32_e32 v25, 0xff000000, v25
	v_addc_co_u32_e64 v29, s[14:15], v29, v27, s[14:15]
	global_store_dword v[28:29], v25, off
	v_mov_b32_e32 v25, s64
	v_add_co_u32_e64 v26, s[14:15], s63, v26
	v_addc_co_u32_e64 v27, s[14:15], v25, v27, s[14:15]
	s_waitcnt vmcnt(1)
	global_store_dword v[26:27], v30, off
	s_branch .LBB16_97
.LBB16_100:
	s_and_saveexec_b64 s[0:1], s[4:5]
	s_cbranch_execz .LBB16_111
; %bb.101:
	s_and_b32 s0, s40, 0xffffff
	s_lshl_b32 s1, s48, 24
	s_or_b32 s4, s1, s0
	s_mov_b32 s5, s4
	s_add_i32 s56, s56, 4
	s_mov_b64 s[2:3], 0
	s_mov_b32 s8, 0
	v_mov_b32_e32 v1, 0
	s_branch .LBB16_103
.LBB16_102:                             ;   in Loop: Header=BB16_103 Depth=1
	s_or_b64 exec, exec, s[12:13]
	v_add_u32_e32 v0, 0x100, v0
	v_cmp_le_i32_e32 vcc, s41, v0
	s_or_b64 s[2:3], vcc, s[2:3]
	s_andn2_b64 exec, exec, s[2:3]
	s_cbranch_execz .LBB16_111
.LBB16_103:                             ; =>This Loop Header: Depth=1
                                        ;     Child Loop BB16_106 Depth 2
                                        ;     Child Loop BB16_110 Depth 2
	v_lshlrev_b32_e32 v2, 2, v0
	v_add_u32_e32 v3, 0, v2
	v_add_u32_e32 v4, s56, v2
	ds_read_b32 v2, v3
	ds_read_b32 v8, v4
	s_waitcnt lgkmcnt(0)
	v_cmp_gt_i32_e32 vcc, v8, v2
	s_and_saveexec_b64 s[12:13], vcc
	s_cbranch_execz .LBB16_102
; %bb.104:                              ;   in Loop: Header=BB16_103 Depth=1
	v_sub_u32_e32 v3, v8, v2
	v_cmp_lt_u32_e32 vcc, 15, v3
	s_mov_b64 s[6:7], -1
	s_and_saveexec_b64 s[0:1], vcc
	s_cbranch_execz .LBB16_108
; %bb.105:                              ;   in Loop: Header=BB16_103 Depth=1
	v_and_b32_e32 v6, -16, v3
	s_mov_b64 s[14:15], 0
	v_mov_b32_e32 v4, v2
	v_mov_b32_e32 v7, v6
.LBB16_106:                             ;   Parent Loop BB16_103 Depth=1
                                        ; =>  This Inner Loop Header: Depth=2
	v_ashrrev_i32_e32 v5, 31, v4
	v_lshlrev_b64 v[14:15], 2, v[4:5]
	v_mov_b32_e32 v5, s21
	v_add_co_u32_e32 v16, vcc, s20, v14
	v_addc_co_u32_e32 v17, vcc, v5, v15, vcc
	s_mov_b32 s6, s4
	s_mov_b32 s7, s5
	v_pk_mov_b32 v[12:13], s[6:7], s[6:7] op_sel:[0,1]
	v_mov_b32_e32 v5, s23
	v_add_co_u32_e32 v14, vcc, s22, v14
	v_pk_mov_b32 v[10:11], s[4:5], s[4:5] op_sel:[0,1]
	v_addc_co_u32_e32 v15, vcc, v5, v15, vcc
	s_mov_b32 s10, s8
	s_mov_b32 s11, s8
	v_add_u32_e32 v7, -16, v7
	global_store_dwordx4 v[16:17], v[10:13], off
	global_store_dwordx4 v[16:17], v[10:13], off offset:16
	global_store_dwordx4 v[16:17], v[10:13], off offset:32
	;; [unrolled: 1-line block ×3, first 2 shown]
	s_mov_b32 s9, s8
	v_pk_mov_b32 v[12:13], s[10:11], s[10:11] op_sel:[0,1]
	v_cmp_eq_u32_e32 vcc, 0, v7
	v_pk_mov_b32 v[10:11], s[8:9], s[8:9] op_sel:[0,1]
	s_or_b64 s[14:15], vcc, s[14:15]
	v_add_u32_e32 v4, 16, v4
	global_store_dwordx4 v[14:15], v[10:13], off
	global_store_dwordx4 v[14:15], v[10:13], off offset:16
	global_store_dwordx4 v[14:15], v[10:13], off offset:32
	;; [unrolled: 1-line block ×3, first 2 shown]
	s_andn2_b64 exec, exec, s[14:15]
	s_cbranch_execnz .LBB16_106
; %bb.107:                              ;   in Loop: Header=BB16_103 Depth=1
	s_or_b64 exec, exec, s[14:15]
	v_cmp_ne_u32_e32 vcc, v3, v6
	v_add_u32_e32 v2, v2, v6
	s_orn2_b64 s[6:7], vcc, exec
.LBB16_108:                             ;   in Loop: Header=BB16_103 Depth=1
	s_or_b64 exec, exec, s[0:1]
	s_and_b64 exec, exec, s[6:7]
	s_cbranch_execz .LBB16_102
; %bb.109:                              ;   in Loop: Header=BB16_103 Depth=1
	v_ashrrev_i32_e32 v3, 31, v2
	v_lshlrev_b64 v[6:7], 2, v[2:3]
	v_mov_b32_e32 v3, s21
	v_add_co_u32_e32 v4, vcc, s20, v6
	v_addc_co_u32_e32 v5, vcc, v3, v7, vcc
	v_mov_b32_e32 v3, s23
	v_add_co_u32_e32 v6, vcc, s22, v6
	v_addc_co_u32_e32 v7, vcc, v3, v7, vcc
	s_mov_b64 s[6:7], 0
.LBB16_110:                             ;   Parent Loop BB16_103 Depth=1
                                        ; =>  This Inner Loop Header: Depth=2
	global_store_dword v[6:7], v1, off
	v_add_co_u32_e32 v6, vcc, 4, v6
	v_mov_b32_e32 v3, s4
	v_add_u32_e32 v2, 1, v2
	v_addc_co_u32_e32 v7, vcc, 0, v7, vcc
	global_store_dword v[4:5], v3, off
	v_cmp_ge_i32_e32 vcc, v2, v8
	v_add_co_u32_e64 v4, s[0:1], 4, v4
	s_or_b64 s[6:7], vcc, s[6:7]
	v_addc_co_u32_e64 v5, vcc, 0, v5, s[0:1]
	s_andn2_b64 exec, exec, s[6:7]
	s_cbranch_execnz .LBB16_110
	s_branch .LBB16_102
.LBB16_111:
	s_endpgm
	.section	.rodata,"a",@progbits
	.p2align	6, 0x0
	.amdhsa_kernel _ZN5aiter22opus_moe_sorting_entryINS_16MoeSortingKernelINS_19MoeSortingProblemExIifLi1ELb0ELb1ELb0ELb1ELi0EEEEENS4_5KargsEEEvT0_
		.amdhsa_group_segment_fixed_size 0
		.amdhsa_private_segment_fixed_size 0
		.amdhsa_kernarg_size 400
		.amdhsa_user_sgpr_count 6
		.amdhsa_user_sgpr_private_segment_buffer 1
		.amdhsa_user_sgpr_dispatch_ptr 0
		.amdhsa_user_sgpr_queue_ptr 0
		.amdhsa_user_sgpr_kernarg_segment_ptr 1
		.amdhsa_user_sgpr_dispatch_id 0
		.amdhsa_user_sgpr_flat_scratch_init 0
		.amdhsa_user_sgpr_kernarg_preload_length 0
		.amdhsa_user_sgpr_kernarg_preload_offset 0
		.amdhsa_user_sgpr_private_segment_size 0
		.amdhsa_uses_dynamic_stack 0
		.amdhsa_system_sgpr_private_segment_wavefront_offset 0
		.amdhsa_system_sgpr_workgroup_id_x 1
		.amdhsa_system_sgpr_workgroup_id_y 0
		.amdhsa_system_sgpr_workgroup_id_z 0
		.amdhsa_system_sgpr_workgroup_info 0
		.amdhsa_system_vgpr_workitem_id 0
		.amdhsa_next_free_vgpr 31
		.amdhsa_next_free_sgpr 70
		.amdhsa_accum_offset 32
		.amdhsa_reserve_vcc 1
		.amdhsa_reserve_flat_scratch 0
		.amdhsa_float_round_mode_32 0
		.amdhsa_float_round_mode_16_64 0
		.amdhsa_float_denorm_mode_32 3
		.amdhsa_float_denorm_mode_16_64 3
		.amdhsa_dx10_clamp 1
		.amdhsa_ieee_mode 1
		.amdhsa_fp16_overflow 0
		.amdhsa_tg_split 0
		.amdhsa_exception_fp_ieee_invalid_op 0
		.amdhsa_exception_fp_denorm_src 0
		.amdhsa_exception_fp_ieee_div_zero 0
		.amdhsa_exception_fp_ieee_overflow 0
		.amdhsa_exception_fp_ieee_underflow 0
		.amdhsa_exception_fp_ieee_inexact 0
		.amdhsa_exception_int_div_zero 0
	.end_amdhsa_kernel
	.section	.text._ZN5aiter22opus_moe_sorting_entryINS_16MoeSortingKernelINS_19MoeSortingProblemExIifLi1ELb0ELb1ELb0ELb1ELi0EEEEENS4_5KargsEEEvT0_,"axG",@progbits,_ZN5aiter22opus_moe_sorting_entryINS_16MoeSortingKernelINS_19MoeSortingProblemExIifLi1ELb0ELb1ELb0ELb1ELi0EEEEENS4_5KargsEEEvT0_,comdat
.Lfunc_end16:
	.size	_ZN5aiter22opus_moe_sorting_entryINS_16MoeSortingKernelINS_19MoeSortingProblemExIifLi1ELb0ELb1ELb0ELb1ELi0EEEEENS4_5KargsEEEvT0_, .Lfunc_end16-_ZN5aiter22opus_moe_sorting_entryINS_16MoeSortingKernelINS_19MoeSortingProblemExIifLi1ELb0ELb1ELb0ELb1ELi0EEEEENS4_5KargsEEEvT0_
                                        ; -- End function
	.section	.AMDGPU.csdata,"",@progbits
; Kernel info:
; codeLenInByte = 4772
; NumSgprs: 74
; NumVgprs: 31
; NumAgprs: 0
; TotalNumVgprs: 31
; ScratchSize: 0
; MemoryBound: 0
; FloatMode: 240
; IeeeMode: 1
; LDSByteSize: 0 bytes/workgroup (compile time only)
; SGPRBlocks: 9
; VGPRBlocks: 3
; NumSGPRsForWavesPerEU: 74
; NumVGPRsForWavesPerEU: 31
; AccumOffset: 32
; Occupancy: 8
; WaveLimiterHint : 1
; COMPUTE_PGM_RSRC2:SCRATCH_EN: 0
; COMPUTE_PGM_RSRC2:USER_SGPR: 6
; COMPUTE_PGM_RSRC2:TRAP_HANDLER: 0
; COMPUTE_PGM_RSRC2:TGID_X_EN: 1
; COMPUTE_PGM_RSRC2:TGID_Y_EN: 0
; COMPUTE_PGM_RSRC2:TGID_Z_EN: 0
; COMPUTE_PGM_RSRC2:TIDIG_COMP_CNT: 0
; COMPUTE_PGM_RSRC3_GFX90A:ACCUM_OFFSET: 7
; COMPUTE_PGM_RSRC3_GFX90A:TG_SPLIT: 0
	.section	.text._ZN5aiter22opus_moe_sorting_entryINS_16MoeSortingKernelINS_19MoeSortingProblemExIifLi8ELb1ELb0ELb1ELb1ELi0EEEEENS4_5KargsEEEvT0_,"axG",@progbits,_ZN5aiter22opus_moe_sorting_entryINS_16MoeSortingKernelINS_19MoeSortingProblemExIifLi8ELb1ELb0ELb1ELb1ELi0EEEEENS4_5KargsEEEvT0_,comdat
	.protected	_ZN5aiter22opus_moe_sorting_entryINS_16MoeSortingKernelINS_19MoeSortingProblemExIifLi8ELb1ELb0ELb1ELb1ELi0EEEEENS4_5KargsEEEvT0_ ; -- Begin function _ZN5aiter22opus_moe_sorting_entryINS_16MoeSortingKernelINS_19MoeSortingProblemExIifLi8ELb1ELb0ELb1ELb1ELi0EEEEENS4_5KargsEEEvT0_
	.globl	_ZN5aiter22opus_moe_sorting_entryINS_16MoeSortingKernelINS_19MoeSortingProblemExIifLi8ELb1ELb0ELb1ELb1ELi0EEEEENS4_5KargsEEEvT0_
	.p2align	8
	.type	_ZN5aiter22opus_moe_sorting_entryINS_16MoeSortingKernelINS_19MoeSortingProblemExIifLi8ELb1ELb0ELb1ELb1ELi0EEEEENS4_5KargsEEEvT0_,@function
_ZN5aiter22opus_moe_sorting_entryINS_16MoeSortingKernelINS_19MoeSortingProblemExIifLi8ELb1ELb0ELb1ELb1ELi0EEEEENS4_5KargsEEEvT0_: ; @_ZN5aiter22opus_moe_sorting_entryINS_16MoeSortingKernelINS_19MoeSortingProblemExIifLi8ELb1ELb0ELb1ELb1ELi0EEEEENS4_5KargsEEEvT0_
; %bb.0:
	s_load_dwordx8 s[20:27], s[4:5], 0x18
	s_load_dwordx4 s[48:51], s[4:5], 0x38
	s_load_dwordx2 s[34:35], s[4:5], 0x48
	s_load_dwordx4 s[28:31], s[4:5], 0x54
	s_cmp_eq_u32 s6, 0
	s_waitcnt lgkmcnt(0)
	s_load_dword s33, s[20:21], 0x0
	s_cbranch_scc1 .LBB17_7
; %bb.1:
	s_cmp_eq_u64 s[50:51], 0
	s_mov_b64 s[2:3], 0
	s_cbranch_scc1 .LBB17_6
; %bb.2:
	s_waitcnt lgkmcnt(0)
	s_ashr_i32 s0, s33, 31
	s_mul_i32 s7, s30, s29
	s_mul_hi_i32 s1, s30, s29
	s_mul_i32 s0, s7, s0
	s_mul_hi_u32 s8, s7, s33
	s_add_i32 s0, s8, s0
	s_mul_i32 s1, s1, s33
	s_add_i32 s1, s0, s1
	s_mul_i32 s0, s7, s33
	s_ashr_i32 s7, s1, 31
	s_lshr_b32 s8, s7, 28
	s_add_u32 s0, s0, s8
	s_addc_u32 s1, s1, 0
	v_lshl_add_u32 v1, s6, 8, v0
	s_ashr_i64 s[8:9], s[0:1], 4
	v_add_u32_e32 v2, 0xffffff00, v1
	v_mov_b32_e32 v3, 0
	s_mov_b32 s7, 0
	v_cmp_gt_i64_e32 vcc, s[8:9], v[2:3]
	s_and_saveexec_b64 s[10:11], vcc
	s_cbranch_execz .LBB17_5
; %bb.3:
	s_load_dword s0, s[4:5], 0x90
	v_lshlrev_b64 v[4:5], 4, v[2:3]
	v_mov_b32_e32 v1, s51
	v_add_co_u32_e32 v8, vcc, s50, v4
	s_waitcnt lgkmcnt(0)
	s_lshl_b32 s0, s0, 8
	s_add_i32 s6, s0, 0xffffff00
	s_lshl_b64 s[12:13], s[6:7], 4
	v_pk_mov_b32 v[6:7], v[2:3], v[2:3] op_sel:[0,1]
	v_addc_co_u32_e32 v9, vcc, v1, v5, vcc
	s_mov_b64 s[14:15], 0
	v_mov_b32_e32 v2, v3
	v_mov_b32_e32 v4, v3
	;; [unrolled: 1-line block ×5, first 2 shown]
.LBB17_4:                               ; =>This Inner Loop Header: Depth=1
	v_add_co_u32_e32 v6, vcc, s6, v6
	v_addc_co_u32_e32 v7, vcc, v7, v1, vcc
	global_store_dwordx4 v[8:9], v[2:5], off
	v_add_co_u32_e32 v8, vcc, s12, v8
	v_cmp_le_i64_e64 s[0:1], s[8:9], v[6:7]
	s_or_b64 s[14:15], s[0:1], s[14:15]
	v_addc_co_u32_e32 v9, vcc, v9, v10, vcc
	s_andn2_b64 exec, exec, s[14:15]
	s_cbranch_execnz .LBB17_4
.LBB17_5:
	s_or_b64 exec, exec, s[10:11]
.LBB17_6:
	s_andn2_b64 vcc, exec, s[2:3]
	s_cbranch_vccz .LBB17_8
	s_branch .LBB17_84
.LBB17_7:
.LBB17_8:
	s_load_dwordx8 s[36:43], s[4:5], 0x64
	s_load_dwordx4 s[44:47], s[4:5], 0x0
	s_load_dwordx2 s[0:1], s[4:5], 0x84
	v_lshrrev_b32_e32 v1, 6, v0
	v_readfirstlane_b32 s53, v1
	s_waitcnt lgkmcnt(0)
	s_add_i32 s29, s36, -2
	s_mul_i32 s10, s29, s28
	s_add_i32 s12, s28, 1
	v_cmp_gt_i32_e32 vcc, s10, v0
	s_and_saveexec_b64 s[2:3], vcc
	s_cbranch_execz .LBB17_18
; %bb.9:
	v_xad_u32 v2, v0, -1, s10
	s_movk_i32 s6, 0xff
	s_mov_b32 s5, 0
	s_mov_b32 s4, s0
	s_sub_i32 s0, s12, s43
	v_cmp_lt_u32_e32 vcc, s6, v2
	s_mov_b64 s[8:9], 0
                                        ; implicit-def: $vgpr1
                                        ; implicit-def: $sgpr11
	s_and_saveexec_b64 s[6:7], vcc
	s_xor_b64 s[6:7], exec, s[6:7]
	s_cbranch_execnz .LBB17_12
; %bb.10:
	s_or_saveexec_b64 s[6:7], s[6:7]
	v_mov_b32_e32 v2, s11
	s_xor_b64 exec, exec, s[6:7]
	s_cbranch_execnz .LBB17_15
.LBB17_11:
	s_or_b64 exec, exec, s[6:7]
	s_and_b64 exec, exec, s[8:9]
	s_cbranch_execnz .LBB17_16
	s_branch .LBB17_18
.LBB17_12:
	v_lshrrev_b32_e32 v1, 8, v2
	v_add_u32_e32 v4, 1, v1
	s_lshl_b32 s11, s28, 3
	v_and_b32_e32 v5, 0x1fffffe, v4
	v_add_u32_e32 v1, 0x100, v0
	s_add_i32 s8, s11, 0
	s_mov_b32 s13, s4
	s_mov_b32 s14, s1
	;; [unrolled: 1-line block ×3, first 2 shown]
	v_lshl_add_u32 v6, v0, 2, s8
	s_mov_b64 s[8:9], 0
	v_mov_b32_e32 v7, 0
	v_mov_b32_e32 v8, v5
	v_pk_mov_b32 v[2:3], v[0:1], v[0:1] op_sel:[0,1]
.LBB17_13:                              ; =>This Inner Loop Header: Depth=1
	v_mul_hi_u32 v1, s4, v2
	v_mul_hi_u32 v9, s13, v3
	v_add_u32_e32 v9, v3, v9
	v_add_u32_e32 v1, v2, v1
	v_add_u32_e32 v8, -2, v8
	v_lshrrev_b32_e32 v1, s14, v1
	v_lshrrev_b32_e32 v9, s1, v9
	v_cmp_eq_u32_e32 vcc, 0, v8
	v_mul_lo_u32 v9, v9, s15
	v_mul_lo_u32 v1, v1, s0
	v_add_u32_e32 v3, 0x200, v3
	v_add_u32_e32 v2, 0x200, v2
	s_or_b64 s[8:9], vcc, s[8:9]
	v_lshl_add_u32 v1, v1, 2, v6
	v_lshl_add_u32 v9, v9, 2, v6
	v_add_u32_e32 v6, 0x800, v6
	ds_write_b32 v1, v7 offset:8
	ds_write_b32 v9, v7 offset:1032
	s_andn2_b64 exec, exec, s[8:9]
	s_cbranch_execnz .LBB17_13
; %bb.14:
	s_or_b64 exec, exec, s[8:9]
	v_cmp_ne_u32_e32 vcc, v4, v5
	v_lshl_add_u32 v1, v5, 8, v0
	s_and_b64 s[8:9], vcc, exec
	s_or_saveexec_b64 s[6:7], s[6:7]
	v_mov_b32_e32 v2, s11
	s_xor_b64 exec, exec, s[6:7]
	s_cbranch_execz .LBB17_11
.LBB17_15:
	s_lshl_b32 s11, s28, 3
	v_mov_b32_e32 v2, s11
	s_or_b64 s[8:9], s[8:9], exec
	v_mov_b32_e32 v1, v0
	s_or_b64 exec, exec, s[6:7]
	s_and_b64 exec, exec, s[8:9]
	s_cbranch_execz .LBB17_18
.LBB17_16:
	v_lshl_add_u32 v2, v1, 2, v2
	v_mad_u64_u32 v[4:5], s[6:7], v1, s4, 0
	s_lshl_b64 s[4:5], s[4:5], 8
	s_lshl_b32 s0, s0, 2
	v_add3_u32 v2, v2, 0, 8
	s_mov_b64 s[6:7], 0
	v_mov_b32_e32 v3, 0
	v_mov_b32_e32 v6, s5
.LBB17_17:                              ; =>This Inner Loop Header: Depth=1
	v_add_co_u32_e32 v4, vcc, s4, v4
	v_add_u32_e32 v7, v1, v5
	v_add_u32_e32 v1, 0x100, v1
	v_addc_co_u32_e32 v5, vcc, v5, v6, vcc
	v_lshrrev_b32_e32 v7, s1, v7
	v_cmp_le_i32_e32 vcc, s10, v1
	v_mad_u64_u32 v[8:9], s[8:9], s0, v7, v[2:3]
	v_add_u32_e32 v2, 0x400, v2
	s_or_b64 s[6:7], vcc, s[6:7]
	ds_write_b32 v8, v3
	s_andn2_b64 exec, exec, s[6:7]
	s_cbranch_execnz .LBB17_17
.LBB17_18:
	s_or_b64 exec, exec, s[2:3]
	s_cmp_gt_i32 s33, 0
	s_mov_b32 s3, 0
	s_cselect_b64 s[30:31], -1, 0
	s_cmp_lt_i32 s33, 1
	s_mul_i32 s52, s40, s29
	s_waitcnt lgkmcnt(0)
	s_barrier
	s_cbranch_scc1 .LBB17_26
; %bb.19:
	s_lshl_b32 s0, s12, 3
	s_mov_b32 s2, s41
	s_add_i32 s13, s0, 0
	v_cmp_gt_i32_e32 vcc, s52, v0
	s_sub_i32 s14, 0, s40
	v_mad_u64_u32 v[2:3], s[0:1], v0, s41, 0
	s_lshl_b64 s[4:5], s[2:3], 8
	v_mov_b32_e32 v5, 0
	s_mov_b32 s2, 0
	s_branch .LBB17_21
.LBB17_20:                              ;   in Loop: Header=BB17_21 Depth=1
	s_or_b64 exec, exec, s[6:7]
	s_add_i32 s2, s2, s29
	s_add_i32 s3, s3, s52
	s_cmp_ge_i32 s2, s33
	s_barrier
	s_cbranch_scc1 .LBB17_26
.LBB17_21:                              ; =>This Loop Header: Depth=1
                                        ;     Child Loop BB17_24 Depth 2
	s_and_saveexec_b64 s[6:7], vcc
	s_cbranch_execz .LBB17_20
; %bb.22:                               ;   in Loop: Header=BB17_21 Depth=1
	s_mov_b64 s[8:9], 0
	v_pk_mov_b32 v[6:7], v[2:3], v[2:3] op_sel:[0,1]
	v_mov_b32_e32 v1, v0
	s_branch .LBB17_24
.LBB17_23:                              ;   in Loop: Header=BB17_24 Depth=2
	s_or_b64 exec, exec, s[10:11]
	v_add_u32_e32 v1, 0x100, v1
	v_cmp_le_i32_e64 s[0:1], s52, v1
	v_mov_b32_e32 v4, s5
	s_or_b64 s[8:9], s[0:1], s[8:9]
	v_add_co_u32_e64 v6, s[0:1], s4, v6
	v_addc_co_u32_e64 v7, s[0:1], v7, v4, s[0:1]
	s_waitcnt lgkmcnt(0)
	s_andn2_b64 exec, exec, s[8:9]
	s_cbranch_execz .LBB17_20
.LBB17_24:                              ;   Parent Loop BB17_21 Depth=1
                                        ; =>  This Inner Loop Header: Depth=2
	v_add_u32_e32 v4, v1, v7
	v_lshrrev_b32_e32 v8, s42, v4
	v_add_u32_e32 v4, s2, v8
	v_cmp_gt_i32_e64 s[0:1], s33, v4
	s_and_saveexec_b64 s[10:11], s[0:1]
	s_cbranch_execz .LBB17_23
; %bb.25:                               ;   in Loop: Header=BB17_24 Depth=2
	v_add_u32_e32 v4, s3, v1
	v_lshlrev_b64 v[10:11], 2, v[4:5]
	v_mov_b32_e32 v4, s45
	v_add_co_u32_e64 v10, s[0:1], s44, v10
	v_addc_co_u32_e64 v11, s[0:1], v4, v11, s[0:1]
	global_load_dword v4, v[10:11], off
	v_mul_lo_u32 v9, s14, v8
	v_mul_lo_u32 v8, v8, s12
	v_lshlrev_b32_e32 v8, 2, v8
	v_add3_u32 v9, v1, v9, 1
	s_waitcnt vmcnt(0)
	v_lshlrev_b32_e32 v4, 2, v4
	v_add3_u32 v4, s13, v4, v8
	ds_write_b32 v4, v9
	s_branch .LBB17_23
.LBB17_26:
	v_cmp_eq_u32_e32 vcc, 0, v0
	s_and_saveexec_b64 s[0:1], vcc
	s_cbranch_execz .LBB17_28
; %bb.27:
	v_mov_b32_e32 v1, 0
	ds_write_b32 v1, v1
.LBB17_28:
	s_or_b64 exec, exec, s[0:1]
	v_mbcnt_lo_u32_b32 v1, -1, 0
	v_and_b32_e32 v9, 7, v0
	v_mbcnt_hi_u32_b32 v12, -1, v1
	v_lshrrev_b32_e32 v8, 3, v0
	v_mul_lo_u32 v1, s12, v9
	v_cmp_gt_i32_e64 s[0:1], s28, v8
	v_lshlrev_b32_e32 v10, 2, v1
	v_lshlrev_b32_e32 v11, 2, v8
	s_and_saveexec_b64 s[42:43], s[0:1]
	s_cbranch_execz .LBB17_36
; %bb.29:
	s_cmp_gt_i32 s36, 2
	s_cselect_b64 s[4:5], -1, 0
	s_lshl_b32 s6, s28, 3
	v_lshlrev_b32_e32 v3, 2, v12
	v_add3_u32 v4, v10, s6, v11
	s_lshl_b32 s36, s28, 8
	s_lshl_b32 s41, s28, 5
	v_cndmask_b32_e64 v5, 0, 1, s[4:5]
	v_xor_b32_e32 v1, 4, v3
	v_xor_b32_e32 v2, 8, v3
	v_xor_b32_e32 v3, 16, v3
	v_cmp_eq_u32_e64 s[2:3], 0, v9
	v_add3_u32 v4, v4, 0, 8
	s_addk_i32 s36, 0x100
	s_add_i32 s54, s41, 32
	s_mov_b64 s[50:51], 0
	v_cmp_ne_u32_e64 s[4:5], 1, v5
	v_mov_b32_e32 v5, v8
	s_branch .LBB17_31
.LBB17_30:                              ;   in Loop: Header=BB17_31 Depth=1
	s_or_b64 exec, exec, s[6:7]
	v_add_u32_e32 v5, 32, v5
	v_cmp_le_i32_e32 vcc, s28, v5
	s_or_b64 s[50:51], vcc, s[50:51]
	v_add_u32_e32 v4, 0x80, v4
	s_andn2_b64 exec, exec, s[50:51]
	s_cbranch_execz .LBB17_36
.LBB17_31:                              ; =>This Loop Header: Depth=1
                                        ;     Child Loop BB17_33 Depth 2
	s_and_b64 vcc, exec, s[4:5]
	v_mov_b32_e32 v6, 0
	s_cbranch_vccnz .LBB17_34
; %bb.32:                               ;   in Loop: Header=BB17_31 Depth=1
	s_mov_b32 s55, 0
	v_mov_b32_e32 v6, 0
	v_mov_b32_e32 v7, v4
.LBB17_33:                              ;   Parent Loop BB17_31 Depth=1
                                        ; =>  This Inner Loop Header: Depth=2
	ds_read_b32 v13, v7
	v_add_u32_e32 v14, s41, v7
	v_add_u32_e32 v15, s54, v14
	ds_read_b32 v14, v14 offset:32
	v_add_u32_e32 v16, s54, v15
	ds_read_b32 v15, v15 offset:32
	;; [unrolled: 2-line block ×3, first 2 shown]
	ds_read_b32 v18, v17 offset:32
	v_add_u32_e32 v17, s54, v17
	s_waitcnt lgkmcnt(4)
	v_cmp_ne_u32_e32 vcc, 0, v13
	v_cndmask_b32_e64 v13, 0, 1, vcc
	ds_read_b32 v19, v17 offset:32
	v_add_u32_e32 v17, s54, v17
	s_waitcnt lgkmcnt(4)
	v_cmp_ne_u32_e64 s[6:7], 0, v14
	ds_read_b32 v20, v17 offset:32
	v_add_u32_e32 v17, s54, v17
	ds_bpermute_b32 v13, v1, v13
	v_cndmask_b32_e64 v14, 0, 1, s[6:7]
	s_waitcnt lgkmcnt(5)
	v_cmp_ne_u32_e64 s[8:9], 0, v15
	ds_read_b32 v17, v17 offset:32
	v_cndmask_b32_e64 v15, 0, 1, s[8:9]
	ds_bpermute_b32 v14, v1, v14
	s_waitcnt lgkmcnt(6)
	v_cmp_ne_u32_e64 s[10:11], 0, v16
	v_cndmask_b32_e64 v16, 0, 1, s[10:11]
	ds_bpermute_b32 v15, v1, v15
	s_waitcnt lgkmcnt(6)
	v_cmp_ne_u32_e64 s[12:13], 0, v18
	v_cndmask_b32_e64 v18, 0, 1, s[12:13]
	ds_bpermute_b32 v16, v1, v16
	s_waitcnt lgkmcnt(6)
	v_cmp_ne_u32_e64 s[14:15], 0, v19
	v_cndmask_b32_e64 v19, 0, 1, s[14:15]
	ds_bpermute_b32 v18, v1, v18
	s_waitcnt lgkmcnt(6)
	v_cmp_ne_u32_e64 s[16:17], 0, v20
	s_waitcnt lgkmcnt(5)
	v_addc_co_u32_e64 v21, s[18:19], 0, v13, vcc
	v_cndmask_b32_e64 v20, 0, 1, s[16:17]
	ds_bpermute_b32 v19, v1, v19
	s_waitcnt lgkmcnt(5)
	v_cmp_ne_u32_e64 s[18:19], 0, v17
	v_cndmask_b32_e64 v17, 0, 1, s[18:19]
	ds_bpermute_b32 v21, v2, v21
	s_waitcnt lgkmcnt(5)
	v_addc_co_u32_e64 v22, s[20:21], 0, v14, s[6:7]
	ds_bpermute_b32 v20, v1, v20
	ds_bpermute_b32 v22, v2, v22
	s_waitcnt lgkmcnt(6)
	v_addc_co_u32_e64 v23, s[20:21], 0, v15, s[8:9]
	ds_bpermute_b32 v17, v1, v17
	;; [unrolled: 4-line block ×3, first 2 shown]
	s_waitcnt lgkmcnt(7)
	v_addc_co_u32_e64 v25, s[20:21], 0, v18, s[12:13]
	ds_bpermute_b32 v25, v2, v25
	s_waitcnt lgkmcnt(7)
	v_addc_co_u32_e64 v26, s[20:21], 0, v19, s[14:15]
	s_waitcnt lgkmcnt(6)
	v_addc_co_u32_e32 v13, vcc, v21, v13, vcc
	ds_bpermute_b32 v21, v2, v26
	s_waitcnt lgkmcnt(6)
	v_addc_co_u32_e64 v26, vcc, 0, v20, s[16:17]
	ds_bpermute_b32 v27, v3, v13
	s_waitcnt lgkmcnt(6)
	v_addc_co_u32_e64 v14, vcc, v22, v14, s[6:7]
	;; [unrolled: 3-line block ×4, first 2 shown]
	ds_bpermute_b32 v23, v2, v26
	ds_bpermute_b32 v26, v3, v15
	s_waitcnt lgkmcnt(7)
	v_addc_co_u32_e64 v16, vcc, v24, v16, s[10:11]
	ds_bpermute_b32 v24, v3, v16
	s_waitcnt lgkmcnt(7)
	v_addc_co_u32_e64 v18, vcc, v25, v18, s[12:13]
	;; [unrolled: 3-line block ×3, first 2 shown]
	s_waitcnt lgkmcnt(6)
	v_add3_u32 v6, v13, v6, v27
	ds_bpermute_b32 v13, v3, v19
	s_waitcnt lgkmcnt(6)
	v_addc_co_u32_e64 v20, vcc, v22, v20, s[16:17]
	s_waitcnt lgkmcnt(5)
	v_add3_u32 v6, v6, v14, v28
	ds_bpermute_b32 v14, v3, v20
	s_waitcnt lgkmcnt(5)
	v_addc_co_u32_e64 v17, vcc, v23, v17, s[18:19]
	s_waitcnt lgkmcnt(4)
	v_add3_u32 v6, v6, v15, v26
	ds_bpermute_b32 v15, v3, v17
	s_waitcnt lgkmcnt(4)
	v_add3_u32 v6, v6, v16, v24
	s_waitcnt lgkmcnt(3)
	v_add3_u32 v6, v6, v18, v25
	;; [unrolled: 2-line block ×3, first 2 shown]
	s_add_i32 s55, s55, 64
	s_waitcnt lgkmcnt(1)
	v_add3_u32 v6, v6, v20, v14
	v_add_u32_e32 v7, s36, v7
	s_cmp_lt_i32 s55, s29
	s_waitcnt lgkmcnt(0)
	v_add3_u32 v6, v6, v17, v15
	s_cbranch_scc1 .LBB17_33
.LBB17_34:                              ;   in Loop: Header=BB17_31 Depth=1
	s_and_saveexec_b64 s[6:7], s[2:3]
	s_cbranch_execz .LBB17_30
; %bb.35:                               ;   in Loop: Header=BB17_31 Depth=1
	v_lshl_add_u32 v7, v5, 2, 0
	ds_write_b32 v7, v6 offset:4
	s_branch .LBB17_30
.LBB17_36:
	s_or_b64 exec, exec, s[42:43]
	s_cmp_lg_u32 s53, 0
	s_mov_b32 s10, 0
	s_waitcnt lgkmcnt(0)
	s_barrier
	s_cbranch_scc1 .LBB17_45
; %bb.37:
	s_cmp_lt_i32 s28, 1
	v_mov_b32_e32 v2, 0
	s_cbranch_scc1 .LBB17_42
; %bb.38:
	v_lshlrev_b32_e32 v2, 2, v12
	v_and_b32_e32 v3, 0xc0, v2
	v_cmp_eq_u32_e32 vcc, 0, v12
	s_add_i32 s11, s37, -1
	v_add_u32_e32 v1, -4, v3
	v_cmp_lt_u32_e64 s[2:3], 15, v12
	v_add_u32_e32 v3, 0xffffffbc, v3
	v_cmp_lt_u32_e64 s[4:5], 31, v12
	v_add3_u32 v4, v2, 0, 4
	s_branch .LBB17_40
.LBB17_39:                              ;   in Loop: Header=BB17_40 Depth=1
	s_or_b64 exec, exec, s[8:9]
	s_add_i32 s10, s10, 64
	s_cmp_lt_i32 s10, s28
	v_add_u32_e32 v4, 0x100, v4
	s_waitcnt lgkmcnt(0)
	s_cbranch_scc0 .LBB17_42
.LBB17_40:                              ; =>This Inner Loop Header: Depth=1
	ds_read_b32 v5, v4
	v_mov_b32_e32 v2, s10
	v_cndmask_b32_e32 v2, 0, v2, vcc
	v_lshl_add_u32 v2, v2, 2, 0
	ds_read_b32 v2, v2
	s_waitcnt lgkmcnt(1)
	v_add_u32_e32 v5, s11, v5
	v_mul_hi_u32 v6, v5, s38
	v_add_u32_e32 v5, v5, v6
	v_lshrrev_b32_e32 v5, s39, v5
	s_waitcnt lgkmcnt(0)
	v_mad_u64_u32 v[6:7], s[6:7], v5, s37, v[2:3]
	s_nop 1
	v_add_u32_dpp v2, v6, v6 row_shr:1 row_mask:0xf bank_mask:0xf bound_ctrl:1
	v_add_u32_e32 v6, s10, v12
	v_cmp_gt_i32_e64 s[6:7], s28, v6
	v_add_u32_dpp v2, v2, v2 row_shr:2 row_mask:0xf bank_mask:0xf bound_ctrl:1
	s_nop 1
	v_add_u32_dpp v2, v2, v2 row_shr:4 row_mask:0xf bank_mask:0xf bound_ctrl:1
	s_nop 1
	v_add_u32_dpp v2, v2, v2 row_shr:8 row_mask:0xf bank_mask:0xf bound_ctrl:1
	ds_bpermute_b32 v5, v1, v2
	s_waitcnt lgkmcnt(0)
	v_cndmask_b32_e64 v5, 0, v5, s[2:3]
	v_add_u32_e32 v2, v2, v5
	ds_bpermute_b32 v5, v3, v2
	s_waitcnt lgkmcnt(0)
	v_cndmask_b32_e64 v5, 0, v5, s[4:5]
	v_add_u32_e32 v2, v2, v5
	s_and_saveexec_b64 s[8:9], s[6:7]
	s_cbranch_execz .LBB17_39
; %bb.41:                               ;   in Loop: Header=BB17_40 Depth=1
	ds_write_b32 v4, v2
	s_branch .LBB17_39
.LBB17_42:
	v_add_u32_e32 v1, s10, v12
	v_subrev_u32_e32 v1, 63, v1
	v_cmp_eq_u32_e32 vcc, s28, v1
	s_and_saveexec_b64 s[2:3], vcc
	s_cbranch_execz .LBB17_44
; %bb.43:
	v_mov_b32_e32 v1, 0
	v_mov_b32_e32 v3, s33
	global_store_dwordx2 v1, v[2:3], s[48:49]
.LBB17_44:
	s_or_b64 exec, exec, s[2:3]
.LBB17_45:
	s_cmp_eq_u64 s[34:35], 0
	s_barrier
	s_cbranch_scc1 .LBB17_55
; %bb.46:
	s_mul_i32 s10, s33, s40
	v_cmp_gt_i32_e32 vcc, s10, v0
	s_and_saveexec_b64 s[4:5], vcc
	s_cbranch_execz .LBB17_54
; %bb.47:
	v_xad_u32 v1, v0, -1, s10
	s_movk_i32 s2, 0xff
	v_cmp_lt_u32_e32 vcc, s2, v1
	s_mov_b64 s[2:3], -1
	v_mov_b32_e32 v2, v0
	s_and_saveexec_b64 s[6:7], vcc
	s_cbranch_execz .LBB17_51
; %bb.48:
	v_lshrrev_b32_e32 v1, 8, v1
	v_add_u32_e32 v6, 1, v1
	v_and_b32_e32 v7, 0x1fffffe, v6
	v_add_u32_e32 v1, 0x100, v0
	s_mov_b64 s[8:9], 0
	v_mov_b32_e32 v13, s45
	v_mov_b32_e32 v14, s35
	;; [unrolled: 1-line block ×4, first 2 shown]
	v_pk_mov_b32 v[4:5], v[0:1], v[0:1] op_sel:[0,1]
.LBB17_49:                              ; =>This Inner Loop Header: Depth=1
	v_mov_b32_e32 v2, v4
	v_lshlrev_b64 v[16:17], 2, v[2:3]
	v_mov_b32_e32 v2, v5
	v_add_co_u32_e32 v18, vcc, s44, v16
	v_addc_co_u32_e32 v19, vcc, v13, v17, vcc
	v_lshlrev_b64 v[20:21], 2, v[2:3]
	v_add_co_u32_e32 v22, vcc, s44, v20
	v_addc_co_u32_e32 v23, vcc, v13, v21, vcc
	global_load_dword v1, v[18:19], off
	global_load_dword v2, v[22:23], off
	v_add_u32_e32 v15, -2, v15
	v_cmp_eq_u32_e32 vcc, 0, v15
	v_add_co_u32_e64 v16, s[2:3], s34, v16
	v_add_u32_e32 v4, 0x200, v4
	v_add_u32_e32 v5, 0x200, v5
	v_addc_co_u32_e64 v17, s[2:3], v14, v17, s[2:3]
	s_or_b64 s[8:9], vcc, s[8:9]
	v_add_co_u32_e32 v18, vcc, s34, v20
	v_addc_co_u32_e32 v19, vcc, v14, v21, vcc
	s_waitcnt vmcnt(1)
	global_store_dword v[16:17], v1, off
	s_waitcnt vmcnt(1)
	global_store_dword v[18:19], v2, off
	s_andn2_b64 exec, exec, s[8:9]
	s_cbranch_execnz .LBB17_49
; %bb.50:
	s_or_b64 exec, exec, s[8:9]
	v_cmp_ne_u32_e32 vcc, v6, v7
	v_lshl_add_u32 v2, v7, 8, v0
	s_orn2_b64 s[2:3], vcc, exec
.LBB17_51:
	s_or_b64 exec, exec, s[6:7]
	s_and_b64 exec, exec, s[2:3]
	s_cbranch_execz .LBB17_54
; %bb.52:
	v_mov_b32_e32 v3, 0
	v_lshlrev_b64 v[6:7], 2, v[2:3]
	v_mov_b32_e32 v1, s45
	v_add_co_u32_e32 v4, vcc, s44, v6
	v_addc_co_u32_e32 v5, vcc, v1, v7, vcc
	v_mov_b32_e32 v1, s35
	v_add_co_u32_e32 v6, vcc, s34, v6
	v_addc_co_u32_e32 v7, vcc, v1, v7, vcc
	s_mov_b64 s[2:3], 0
.LBB17_53:                              ; =>This Inner Loop Header: Depth=1
	global_load_dword v1, v[4:5], off
	v_add_co_u32_e32 v4, vcc, 0x400, v4
	v_add_u32_e32 v2, 0x100, v2
	v_addc_co_u32_e32 v5, vcc, 0, v5, vcc
	v_cmp_le_i32_e32 vcc, s10, v2
	s_or_b64 s[2:3], vcc, s[2:3]
	s_waitcnt vmcnt(0)
	global_store_dword v[6:7], v1, off
	v_add_co_u32_e32 v6, vcc, 0x400, v6
	v_addc_co_u32_e32 v7, vcc, 0, v7, vcc
	s_andn2_b64 exec, exec, s[2:3]
	s_cbranch_execnz .LBB17_53
.LBB17_54:
	s_or_b64 exec, exec, s[4:5]
	s_barrier
.LBB17_55:
	s_lshl_b32 s12, s28, 2
	s_add_i32 s13, s12, 0
	s_add_i32 s18, s13, 4
	v_cmp_gt_i32_e64 s[2:3], s28, v0
	s_and_saveexec_b64 s[4:5], s[2:3]
	s_cbranch_execz .LBB17_61
; %bb.56:
	s_mov_b64 s[6:7], 0
	v_mov_b32_e32 v3, 0
	v_mov_b32_e32 v1, v0
	s_branch .LBB17_58
.LBB17_57:                              ;   in Loop: Header=BB17_58 Depth=1
	s_or_b64 exec, exec, s[8:9]
	v_add_u32_e32 v1, 0x100, v1
	v_cmp_le_i32_e32 vcc, s28, v1
	s_or_b64 s[6:7], vcc, s[6:7]
	s_andn2_b64 exec, exec, s[6:7]
	s_cbranch_execz .LBB17_61
.LBB17_58:                              ; =>This Loop Header: Depth=1
                                        ;     Child Loop BB17_60 Depth 2
	v_lshlrev_b32_e32 v2, 2, v1
	v_add_u32_e32 v4, 0, v2
	ds_read2_b32 v[4:5], v4 offset1:1
	v_add_u32_e32 v2, s18, v2
	s_waitcnt lgkmcnt(0)
	v_cmp_lt_i32_e32 vcc, v4, v5
	ds_write_b32 v2, v4
	s_and_saveexec_b64 s[8:9], vcc
	s_cbranch_execz .LBB17_57
; %bb.59:                               ;   in Loop: Header=BB17_58 Depth=1
	s_mov_b64 s[10:11], 0
.LBB17_60:                              ;   Parent Loop BB17_58 Depth=1
                                        ; =>  This Inner Loop Header: Depth=2
	v_mul_hi_u32 v2, s38, v4
	v_add_u32_e32 v2, v4, v2
	v_add_u32_e32 v4, s37, v4
	v_lshrrev_b32_e32 v2, s39, v2
	v_cmp_ge_i32_e32 vcc, v4, v5
	v_lshlrev_b64 v[6:7], 2, v[2:3]
	v_mov_b32_e32 v13, s27
	s_or_b64 s[10:11], vcc, s[10:11]
	v_add_co_u32_e32 v6, vcc, s26, v6
	v_addc_co_u32_e32 v7, vcc, v13, v7, vcc
	global_store_dword v[6:7], v1, off
	s_andn2_b64 exec, exec, s[10:11]
	s_cbranch_execnz .LBB17_60
	s_branch .LBB17_57
.LBB17_61:
	s_or_b64 exec, exec, s[4:5]
	v_mov_b32_e32 v1, s13
	s_waitcnt lgkmcnt(0)
	s_barrier
	ds_read_b32 v1, v1
	s_add_i32 s4, s13, s12
	v_mov_b32_e32 v2, s4
	s_andn2_b64 vcc, exec, s[30:31]
	s_waitcnt lgkmcnt(0)
	ds_write_b32 v2, v1 offset:4
	s_cbranch_vccnz .LBB17_73
; %bb.62:
	s_add_u32 s20, s22, -4
	s_addc_u32 s21, s23, -1
	s_add_u32 s26, s46, -4
	s_addc_u32 s27, s47, -1
	;; [unrolled: 2-line block ×3, first 2 shown]
	s_lshl_b32 s6, s28, 3
	v_and_b32_e32 v1, 8, v12
	v_add3_u32 v3, v10, s6, v11
	s_lshl_b32 s35, s28, 5
	v_cmp_gt_i32_e32 vcc, s29, v9
	s_mov_b32 s19, 0
	v_cmp_eq_u32_e64 s[4:5], 0, v1
	v_lshl_or_b32 v1, v0, 2, 28
	v_mul_lo_u32 v2, s40, v9
	s_lshl_b32 s34, s40, 3
	v_add3_u32 v3, v3, 0, 8
	s_add_i32 s35, s35, 32
	s_mov_b32 s36, 0x4020100
	s_branch .LBB17_64
.LBB17_63:                              ;   in Loop: Header=BB17_64 Depth=1
	s_or_b64 exec, exec, s[10:11]
	s_add_i32 s19, s19, s29
	s_cmp_ge_i32 s19, s33
	v_add_u32_e32 v2, s52, v2
	s_waitcnt lgkmcnt(0)
	s_barrier
	s_cbranch_scc1 .LBB17_73
.LBB17_64:                              ; =>This Loop Header: Depth=1
                                        ;     Child Loop BB17_68 Depth 2
                                        ;       Child Loop BB17_71 Depth 3
	s_and_saveexec_b64 s[10:11], s[0:1]
	s_cbranch_execz .LBB17_63
; %bb.65:                               ;   in Loop: Header=BB17_64 Depth=1
	s_mov_b64 s[12:13], 0
	v_mov_b32_e32 v4, v3
	v_mov_b32_e32 v5, v8
	s_branch .LBB17_68
.LBB17_66:                              ;   in Loop: Header=BB17_68 Depth=2
	s_or_b64 exec, exec, s[16:17]
.LBB17_67:                              ;   in Loop: Header=BB17_68 Depth=2
	s_or_b64 exec, exec, s[14:15]
	v_add_u32_e32 v5, 32, v5
	v_cmp_le_i32_e64 s[6:7], s28, v5
	s_or_b64 s[12:13], s[6:7], s[12:13]
	v_add_u32_e32 v4, 0x80, v4
	s_waitcnt lgkmcnt(0)
	ds_write_b32 v6, v7
	s_andn2_b64 exec, exec, s[12:13]
	s_cbranch_execz .LBB17_63
.LBB17_68:                              ;   Parent Loop BB17_64 Depth=1
                                        ; =>  This Loop Header: Depth=2
                                        ;       Child Loop BB17_71 Depth 3
	v_lshl_add_u32 v6, v5, 2, 0
	ds_read_b32 v7, v6
	s_and_saveexec_b64 s[14:15], vcc
	s_cbranch_execz .LBB17_67
; %bb.69:                               ;   in Loop: Header=BB17_68 Depth=2
	s_mov_b64 s[16:17], 0
	v_mov_b32_e32 v10, v4
	v_mov_b32_e32 v11, v2
	;; [unrolled: 1-line block ×3, first 2 shown]
	s_branch .LBB17_71
.LBB17_70:                              ;   in Loop: Header=BB17_71 Depth=3
	s_or_b64 exec, exec, s[8:9]
	ds_bpermute_b32 v13, v1, v13
	v_add_u32_e32 v12, 8, v12
	v_cmp_le_i32_e64 s[6:7], s29, v12
	v_add_u32_e32 v11, s34, v11
	s_or_b64 s[16:17], s[6:7], s[16:17]
	s_waitcnt lgkmcnt(0)
	v_add_u32_e32 v7, v13, v7
	v_add_u32_e32 v10, s35, v10
	s_andn2_b64 exec, exec, s[16:17]
	s_cbranch_execz .LBB17_66
.LBB17_71:                              ;   Parent Loop BB17_64 Depth=1
                                        ;     Parent Loop BB17_68 Depth=2
                                        ; =>    This Inner Loop Header: Depth=3
	ds_read_b32 v14, v10
	s_waitcnt lgkmcnt(0)
	v_cmp_ne_u32_e64 s[6:7], 0, v14
	v_cndmask_b32_e64 v13, 0, 1, s[6:7]
	s_nop 1
	v_mov_b32_dpp v13, v13 row_shr:1 row_mask:0xf bank_mask:0xf bound_ctrl:1
	v_addc_co_u32_e64 v15, s[8:9], 0, v13, s[6:7]
	s_nop 1
	v_mov_b32_dpp v15, v15 row_shr:2 row_mask:0xf bank_mask:0xf bound_ctrl:1
	v_addc_co_u32_e64 v13, s[8:9], v15, v13, s[6:7]
	s_nop 1
	v_add_u32_dpp v13, v13, v13 row_shr:4 row_mask:0xf bank_mask:0xf bound_ctrl:1
	s_nop 1
	v_add_u32_dpp v13, v13, v13 row_shr:8 row_mask:0xf bank_mask:0xf bound_ctrl:1
	s_nop 1
	v_mov_b32_dpp v15, v13 row_newbcast:7 row_mask:0xf bank_mask:0xf bound_ctrl:1
	v_cndmask_b32_e64 v15, v15, 0, s[4:5]
	v_sub_u32_e32 v13, v13, v15
	s_and_saveexec_b64 s[8:9], s[6:7]
	s_cbranch_execz .LBB17_70
; %bb.72:                               ;   in Loop: Header=BB17_71 Depth=3
	v_add_u32_e32 v16, v11, v14
	v_ashrrev_i32_e32 v17, 31, v16
	v_lshlrev_b64 v[16:17], 2, v[16:17]
	v_mov_b32_e32 v15, s27
	v_add_co_u32_e64 v16, s[6:7], s26, v16
	v_addc_co_u32_e64 v17, s[6:7], v15, v17, s[6:7]
	global_load_dword v18, v[16:17], off
	v_add_u32_e32 v15, s19, v12
	v_perm_b32 v14, v14, v15, s36
	v_add_u32_e32 v19, 0xff000000, v14
	v_add_u32_e32 v14, v13, v7
	v_ashrrev_i32_e32 v15, 31, v14
	v_lshlrev_b64 v[14:15], 2, v[14:15]
	v_mov_b32_e32 v17, s21
	v_add_co_u32_e64 v16, s[6:7], s20, v14
	v_addc_co_u32_e64 v17, s[6:7], v17, v15, s[6:7]
	global_store_dword v[16:17], v19, off
	v_mov_b32_e32 v16, s31
	v_add_co_u32_e64 v14, s[6:7], s30, v14
	v_addc_co_u32_e64 v15, s[6:7], v16, v15, s[6:7]
	s_waitcnt vmcnt(1)
	global_store_dword v[14:15], v18, off
	s_branch .LBB17_70
.LBB17_73:
	s_and_saveexec_b64 s[0:1], s[2:3]
	s_cbranch_execz .LBB17_84
; %bb.74:
	s_and_b32 s0, s33, 0xffffff
	s_lshl_b32 s1, s40, 24
	s_or_b32 s4, s0, s1
	s_mov_b32 s5, s4
	s_add_i32 s18, s18, 4
	s_mov_b64 s[2:3], 0
	s_mov_b32 s8, 0
	v_mov_b32_e32 v1, 0
	s_branch .LBB17_76
.LBB17_75:                              ;   in Loop: Header=BB17_76 Depth=1
	s_or_b64 exec, exec, s[12:13]
	v_add_u32_e32 v0, 0x100, v0
	v_cmp_le_i32_e32 vcc, s28, v0
	s_or_b64 s[2:3], vcc, s[2:3]
	s_andn2_b64 exec, exec, s[2:3]
	s_cbranch_execz .LBB17_84
.LBB17_76:                              ; =>This Loop Header: Depth=1
                                        ;     Child Loop BB17_79 Depth 2
                                        ;     Child Loop BB17_83 Depth 2
	v_lshlrev_b32_e32 v2, 2, v0
	v_add_u32_e32 v3, 0, v2
	v_add_u32_e32 v4, s18, v2
	ds_read_b32 v2, v3
	ds_read_b32 v8, v4
	s_waitcnt lgkmcnt(0)
	v_cmp_gt_i32_e32 vcc, v8, v2
	s_and_saveexec_b64 s[12:13], vcc
	s_cbranch_execz .LBB17_75
; %bb.77:                               ;   in Loop: Header=BB17_76 Depth=1
	v_sub_u32_e32 v3, v8, v2
	v_cmp_lt_u32_e32 vcc, 15, v3
	s_mov_b64 s[6:7], -1
	s_and_saveexec_b64 s[0:1], vcc
	s_cbranch_execz .LBB17_81
; %bb.78:                               ;   in Loop: Header=BB17_76 Depth=1
	v_and_b32_e32 v6, -16, v3
	s_mov_b64 s[14:15], 0
	v_mov_b32_e32 v4, v2
	v_mov_b32_e32 v7, v6
.LBB17_79:                              ;   Parent Loop BB17_76 Depth=1
                                        ; =>  This Inner Loop Header: Depth=2
	v_ashrrev_i32_e32 v5, 31, v4
	v_lshlrev_b64 v[14:15], 2, v[4:5]
	v_mov_b32_e32 v5, s23
	v_add_co_u32_e32 v16, vcc, s22, v14
	v_addc_co_u32_e32 v17, vcc, v5, v15, vcc
	s_mov_b32 s6, s4
	s_mov_b32 s7, s5
	v_pk_mov_b32 v[12:13], s[6:7], s[6:7] op_sel:[0,1]
	v_mov_b32_e32 v5, s25
	v_add_co_u32_e32 v14, vcc, s24, v14
	v_pk_mov_b32 v[10:11], s[4:5], s[4:5] op_sel:[0,1]
	v_addc_co_u32_e32 v15, vcc, v5, v15, vcc
	s_mov_b32 s10, s8
	s_mov_b32 s11, s8
	v_add_u32_e32 v7, -16, v7
	global_store_dwordx4 v[16:17], v[10:13], off
	global_store_dwordx4 v[16:17], v[10:13], off offset:16
	global_store_dwordx4 v[16:17], v[10:13], off offset:32
	;; [unrolled: 1-line block ×3, first 2 shown]
	s_mov_b32 s9, s8
	v_pk_mov_b32 v[12:13], s[10:11], s[10:11] op_sel:[0,1]
	v_cmp_eq_u32_e32 vcc, 0, v7
	v_pk_mov_b32 v[10:11], s[8:9], s[8:9] op_sel:[0,1]
	s_or_b64 s[14:15], vcc, s[14:15]
	v_add_u32_e32 v4, 16, v4
	global_store_dwordx4 v[14:15], v[10:13], off
	global_store_dwordx4 v[14:15], v[10:13], off offset:16
	global_store_dwordx4 v[14:15], v[10:13], off offset:32
	;; [unrolled: 1-line block ×3, first 2 shown]
	s_andn2_b64 exec, exec, s[14:15]
	s_cbranch_execnz .LBB17_79
; %bb.80:                               ;   in Loop: Header=BB17_76 Depth=1
	s_or_b64 exec, exec, s[14:15]
	v_cmp_ne_u32_e32 vcc, v3, v6
	v_add_u32_e32 v2, v2, v6
	s_orn2_b64 s[6:7], vcc, exec
.LBB17_81:                              ;   in Loop: Header=BB17_76 Depth=1
	s_or_b64 exec, exec, s[0:1]
	s_and_b64 exec, exec, s[6:7]
	s_cbranch_execz .LBB17_75
; %bb.82:                               ;   in Loop: Header=BB17_76 Depth=1
	v_ashrrev_i32_e32 v3, 31, v2
	v_lshlrev_b64 v[6:7], 2, v[2:3]
	v_mov_b32_e32 v3, s23
	v_add_co_u32_e32 v4, vcc, s22, v6
	v_addc_co_u32_e32 v5, vcc, v3, v7, vcc
	v_mov_b32_e32 v3, s25
	v_add_co_u32_e32 v6, vcc, s24, v6
	v_addc_co_u32_e32 v7, vcc, v3, v7, vcc
	s_mov_b64 s[6:7], 0
.LBB17_83:                              ;   Parent Loop BB17_76 Depth=1
                                        ; =>  This Inner Loop Header: Depth=2
	global_store_dword v[6:7], v1, off
	v_add_co_u32_e32 v6, vcc, 4, v6
	v_mov_b32_e32 v3, s4
	v_add_u32_e32 v2, 1, v2
	v_addc_co_u32_e32 v7, vcc, 0, v7, vcc
	global_store_dword v[4:5], v3, off
	v_cmp_ge_i32_e32 vcc, v2, v8
	v_add_co_u32_e64 v4, s[0:1], 4, v4
	s_or_b64 s[6:7], vcc, s[6:7]
	v_addc_co_u32_e64 v5, vcc, 0, v5, s[0:1]
	s_andn2_b64 exec, exec, s[6:7]
	s_cbranch_execnz .LBB17_83
	s_branch .LBB17_75
.LBB17_84:
	s_endpgm
	.section	.rodata,"a",@progbits
	.p2align	6, 0x0
	.amdhsa_kernel _ZN5aiter22opus_moe_sorting_entryINS_16MoeSortingKernelINS_19MoeSortingProblemExIifLi8ELb1ELb0ELb1ELb1ELi0EEEEENS4_5KargsEEEvT0_
		.amdhsa_group_segment_fixed_size 0
		.amdhsa_private_segment_fixed_size 0
		.amdhsa_kernarg_size 400
		.amdhsa_user_sgpr_count 6
		.amdhsa_user_sgpr_private_segment_buffer 1
		.amdhsa_user_sgpr_dispatch_ptr 0
		.amdhsa_user_sgpr_queue_ptr 0
		.amdhsa_user_sgpr_kernarg_segment_ptr 1
		.amdhsa_user_sgpr_dispatch_id 0
		.amdhsa_user_sgpr_flat_scratch_init 0
		.amdhsa_user_sgpr_kernarg_preload_length 0
		.amdhsa_user_sgpr_kernarg_preload_offset 0
		.amdhsa_user_sgpr_private_segment_size 0
		.amdhsa_uses_dynamic_stack 0
		.amdhsa_system_sgpr_private_segment_wavefront_offset 0
		.amdhsa_system_sgpr_workgroup_id_x 1
		.amdhsa_system_sgpr_workgroup_id_y 0
		.amdhsa_system_sgpr_workgroup_id_z 0
		.amdhsa_system_sgpr_workgroup_info 0
		.amdhsa_system_vgpr_workitem_id 0
		.amdhsa_next_free_vgpr 29
		.amdhsa_next_free_sgpr 56
		.amdhsa_accum_offset 32
		.amdhsa_reserve_vcc 1
		.amdhsa_reserve_flat_scratch 0
		.amdhsa_float_round_mode_32 0
		.amdhsa_float_round_mode_16_64 0
		.amdhsa_float_denorm_mode_32 3
		.amdhsa_float_denorm_mode_16_64 3
		.amdhsa_dx10_clamp 1
		.amdhsa_ieee_mode 1
		.amdhsa_fp16_overflow 0
		.amdhsa_tg_split 0
		.amdhsa_exception_fp_ieee_invalid_op 0
		.amdhsa_exception_fp_denorm_src 0
		.amdhsa_exception_fp_ieee_div_zero 0
		.amdhsa_exception_fp_ieee_overflow 0
		.amdhsa_exception_fp_ieee_underflow 0
		.amdhsa_exception_fp_ieee_inexact 0
		.amdhsa_exception_int_div_zero 0
	.end_amdhsa_kernel
	.section	.text._ZN5aiter22opus_moe_sorting_entryINS_16MoeSortingKernelINS_19MoeSortingProblemExIifLi8ELb1ELb0ELb1ELb1ELi0EEEEENS4_5KargsEEEvT0_,"axG",@progbits,_ZN5aiter22opus_moe_sorting_entryINS_16MoeSortingKernelINS_19MoeSortingProblemExIifLi8ELb1ELb0ELb1ELb1ELi0EEEEENS4_5KargsEEEvT0_,comdat
.Lfunc_end17:
	.size	_ZN5aiter22opus_moe_sorting_entryINS_16MoeSortingKernelINS_19MoeSortingProblemExIifLi8ELb1ELb0ELb1ELb1ELi0EEEEENS4_5KargsEEEvT0_, .Lfunc_end17-_ZN5aiter22opus_moe_sorting_entryINS_16MoeSortingKernelINS_19MoeSortingProblemExIifLi8ELb1ELb0ELb1ELb1ELi0EEEEENS4_5KargsEEEvT0_
                                        ; -- End function
	.section	.AMDGPU.csdata,"",@progbits
; Kernel info:
; codeLenInByte = 4160
; NumSgprs: 60
; NumVgprs: 29
; NumAgprs: 0
; TotalNumVgprs: 29
; ScratchSize: 0
; MemoryBound: 0
; FloatMode: 240
; IeeeMode: 1
; LDSByteSize: 0 bytes/workgroup (compile time only)
; SGPRBlocks: 7
; VGPRBlocks: 3
; NumSGPRsForWavesPerEU: 60
; NumVGPRsForWavesPerEU: 29
; AccumOffset: 32
; Occupancy: 8
; WaveLimiterHint : 1
; COMPUTE_PGM_RSRC2:SCRATCH_EN: 0
; COMPUTE_PGM_RSRC2:USER_SGPR: 6
; COMPUTE_PGM_RSRC2:TRAP_HANDLER: 0
; COMPUTE_PGM_RSRC2:TGID_X_EN: 1
; COMPUTE_PGM_RSRC2:TGID_Y_EN: 0
; COMPUTE_PGM_RSRC2:TGID_Z_EN: 0
; COMPUTE_PGM_RSRC2:TIDIG_COMP_CNT: 0
; COMPUTE_PGM_RSRC3_GFX90A:ACCUM_OFFSET: 7
; COMPUTE_PGM_RSRC3_GFX90A:TG_SPLIT: 0
	.section	.text._ZN5aiter22opus_moe_sorting_entryINS_16MoeSortingKernelINS_19MoeSortingProblemExIifLi4ELb1ELb0ELb1ELb1ELi0EEEEENS4_5KargsEEEvT0_,"axG",@progbits,_ZN5aiter22opus_moe_sorting_entryINS_16MoeSortingKernelINS_19MoeSortingProblemExIifLi4ELb1ELb0ELb1ELb1ELi0EEEEENS4_5KargsEEEvT0_,comdat
	.protected	_ZN5aiter22opus_moe_sorting_entryINS_16MoeSortingKernelINS_19MoeSortingProblemExIifLi4ELb1ELb0ELb1ELb1ELi0EEEEENS4_5KargsEEEvT0_ ; -- Begin function _ZN5aiter22opus_moe_sorting_entryINS_16MoeSortingKernelINS_19MoeSortingProblemExIifLi4ELb1ELb0ELb1ELb1ELi0EEEEENS4_5KargsEEEvT0_
	.globl	_ZN5aiter22opus_moe_sorting_entryINS_16MoeSortingKernelINS_19MoeSortingProblemExIifLi4ELb1ELb0ELb1ELb1ELi0EEEEENS4_5KargsEEEvT0_
	.p2align	8
	.type	_ZN5aiter22opus_moe_sorting_entryINS_16MoeSortingKernelINS_19MoeSortingProblemExIifLi4ELb1ELb0ELb1ELb1ELi0EEEEENS4_5KargsEEEvT0_,@function
_ZN5aiter22opus_moe_sorting_entryINS_16MoeSortingKernelINS_19MoeSortingProblemExIifLi4ELb1ELb0ELb1ELb1ELi0EEEEENS4_5KargsEEEvT0_: ; @_ZN5aiter22opus_moe_sorting_entryINS_16MoeSortingKernelINS_19MoeSortingProblemExIifLi4ELb1ELb0ELb1ELb1ELi0EEEEENS4_5KargsEEEvT0_
; %bb.0:
	s_load_dwordx8 s[12:19], s[4:5], 0x18
	s_load_dwordx4 s[40:43], s[4:5], 0x38
	s_load_dwordx2 s[34:35], s[4:5], 0x48
	s_load_dwordx4 s[28:31], s[4:5], 0x54
	s_cmp_eq_u32 s6, 0
	s_waitcnt lgkmcnt(0)
	s_load_dword s33, s[12:13], 0x0
	s_cbranch_scc1 .LBB18_7
; %bb.1:
	s_cmp_eq_u64 s[42:43], 0
	s_mov_b64 s[2:3], 0
	s_cbranch_scc1 .LBB18_6
; %bb.2:
	s_waitcnt lgkmcnt(0)
	s_ashr_i32 s0, s33, 31
	s_mul_i32 s7, s30, s29
	s_mul_hi_i32 s1, s30, s29
	s_mul_i32 s0, s7, s0
	s_mul_hi_u32 s8, s7, s33
	s_add_i32 s0, s8, s0
	s_mul_i32 s1, s1, s33
	s_add_i32 s1, s0, s1
	s_mul_i32 s0, s7, s33
	s_ashr_i32 s7, s1, 31
	s_lshr_b32 s8, s7, 28
	s_add_u32 s0, s0, s8
	s_addc_u32 s1, s1, 0
	v_lshl_add_u32 v1, s6, 8, v0
	s_ashr_i64 s[8:9], s[0:1], 4
	v_add_u32_e32 v2, 0xffffff00, v1
	v_mov_b32_e32 v3, 0
	s_mov_b32 s7, 0
	v_cmp_gt_i64_e32 vcc, s[8:9], v[2:3]
	s_and_saveexec_b64 s[10:11], vcc
	s_cbranch_execz .LBB18_5
; %bb.3:
	s_load_dword s0, s[4:5], 0x90
	v_lshlrev_b64 v[4:5], 4, v[2:3]
	v_mov_b32_e32 v1, s43
	v_add_co_u32_e32 v8, vcc, s42, v4
	s_waitcnt lgkmcnt(0)
	s_lshl_b32 s0, s0, 8
	s_add_i32 s6, s0, 0xffffff00
	s_lshl_b64 s[12:13], s[6:7], 4
	v_pk_mov_b32 v[6:7], v[2:3], v[2:3] op_sel:[0,1]
	v_addc_co_u32_e32 v9, vcc, v1, v5, vcc
	s_mov_b64 s[20:21], 0
	v_mov_b32_e32 v2, v3
	v_mov_b32_e32 v4, v3
	;; [unrolled: 1-line block ×5, first 2 shown]
.LBB18_4:                               ; =>This Inner Loop Header: Depth=1
	v_add_co_u32_e32 v6, vcc, s6, v6
	v_addc_co_u32_e32 v7, vcc, v7, v1, vcc
	global_store_dwordx4 v[8:9], v[2:5], off
	v_add_co_u32_e32 v8, vcc, s12, v8
	v_cmp_le_i64_e64 s[0:1], s[8:9], v[6:7]
	s_or_b64 s[20:21], s[0:1], s[20:21]
	v_addc_co_u32_e32 v9, vcc, v9, v10, vcc
	s_andn2_b64 exec, exec, s[20:21]
	s_cbranch_execnz .LBB18_4
.LBB18_5:
	s_or_b64 exec, exec, s[10:11]
.LBB18_6:
	s_andn2_b64 vcc, exec, s[2:3]
	s_cbranch_vccz .LBB18_8
	s_branch .LBB18_84
.LBB18_7:
.LBB18_8:
	s_load_dwordx8 s[20:27], s[4:5], 0x64
	s_load_dwordx4 s[36:39], s[4:5], 0x0
	s_load_dwordx2 s[0:1], s[4:5], 0x84
	v_lshrrev_b32_e32 v1, 6, v0
	v_readfirstlane_b32 s45, v1
	s_waitcnt lgkmcnt(0)
	s_add_i32 s29, s20, -2
	s_mul_i32 s10, s29, s28
	s_add_i32 s12, s28, 1
	v_cmp_gt_i32_e32 vcc, s10, v0
	s_and_saveexec_b64 s[2:3], vcc
	s_cbranch_execz .LBB18_18
; %bb.9:
	v_xad_u32 v2, v0, -1, s10
	s_movk_i32 s6, 0xff
	s_mov_b32 s5, 0
	s_mov_b32 s4, s0
	s_sub_i32 s0, s12, s27
	v_cmp_lt_u32_e32 vcc, s6, v2
	s_mov_b64 s[8:9], 0
                                        ; implicit-def: $vgpr1
                                        ; implicit-def: $sgpr11
	s_and_saveexec_b64 s[6:7], vcc
	s_xor_b64 s[6:7], exec, s[6:7]
	s_cbranch_execnz .LBB18_12
; %bb.10:
	s_or_saveexec_b64 s[6:7], s[6:7]
	v_mov_b32_e32 v2, s11
	s_xor_b64 exec, exec, s[6:7]
	s_cbranch_execnz .LBB18_15
.LBB18_11:
	s_or_b64 exec, exec, s[6:7]
	s_and_b64 exec, exec, s[8:9]
	s_cbranch_execnz .LBB18_16
	s_branch .LBB18_18
.LBB18_12:
	v_lshrrev_b32_e32 v1, 8, v2
	v_add_u32_e32 v4, 1, v1
	s_lshl_b32 s11, s28, 3
	v_and_b32_e32 v5, 0x1fffffe, v4
	v_add_u32_e32 v1, 0x100, v0
	s_add_i32 s8, s11, 0
	s_mov_b32 s13, s4
	s_mov_b32 s27, s1
	;; [unrolled: 1-line block ×3, first 2 shown]
	v_lshl_add_u32 v6, v0, 2, s8
	s_mov_b64 s[8:9], 0
	v_mov_b32_e32 v7, 0
	v_mov_b32_e32 v8, v5
	v_pk_mov_b32 v[2:3], v[0:1], v[0:1] op_sel:[0,1]
.LBB18_13:                              ; =>This Inner Loop Header: Depth=1
	v_mul_hi_u32 v1, s4, v2
	v_mul_hi_u32 v9, s13, v3
	v_add_u32_e32 v9, v3, v9
	v_add_u32_e32 v1, v2, v1
	v_add_u32_e32 v8, -2, v8
	v_lshrrev_b32_e32 v1, s27, v1
	v_lshrrev_b32_e32 v9, s1, v9
	v_cmp_eq_u32_e32 vcc, 0, v8
	v_mul_lo_u32 v9, v9, s30
	v_mul_lo_u32 v1, v1, s0
	v_add_u32_e32 v3, 0x200, v3
	v_add_u32_e32 v2, 0x200, v2
	s_or_b64 s[8:9], vcc, s[8:9]
	v_lshl_add_u32 v1, v1, 2, v6
	v_lshl_add_u32 v9, v9, 2, v6
	v_add_u32_e32 v6, 0x800, v6
	ds_write_b32 v1, v7 offset:8
	ds_write_b32 v9, v7 offset:1032
	s_andn2_b64 exec, exec, s[8:9]
	s_cbranch_execnz .LBB18_13
; %bb.14:
	s_or_b64 exec, exec, s[8:9]
	v_cmp_ne_u32_e32 vcc, v4, v5
	v_lshl_add_u32 v1, v5, 8, v0
	s_and_b64 s[8:9], vcc, exec
	s_or_saveexec_b64 s[6:7], s[6:7]
	v_mov_b32_e32 v2, s11
	s_xor_b64 exec, exec, s[6:7]
	s_cbranch_execz .LBB18_11
.LBB18_15:
	s_lshl_b32 s11, s28, 3
	v_mov_b32_e32 v2, s11
	s_or_b64 s[8:9], s[8:9], exec
	v_mov_b32_e32 v1, v0
	s_or_b64 exec, exec, s[6:7]
	s_and_b64 exec, exec, s[8:9]
	s_cbranch_execz .LBB18_18
.LBB18_16:
	v_lshl_add_u32 v2, v1, 2, v2
	v_mad_u64_u32 v[4:5], s[6:7], v1, s4, 0
	s_lshl_b64 s[4:5], s[4:5], 8
	s_lshl_b32 s0, s0, 2
	v_add3_u32 v2, v2, 0, 8
	s_mov_b64 s[6:7], 0
	v_mov_b32_e32 v3, 0
	v_mov_b32_e32 v6, s5
.LBB18_17:                              ; =>This Inner Loop Header: Depth=1
	v_add_co_u32_e32 v4, vcc, s4, v4
	v_add_u32_e32 v7, v1, v5
	v_add_u32_e32 v1, 0x100, v1
	v_addc_co_u32_e32 v5, vcc, v5, v6, vcc
	v_lshrrev_b32_e32 v7, s1, v7
	v_cmp_le_i32_e32 vcc, s10, v1
	v_mad_u64_u32 v[8:9], s[8:9], s0, v7, v[2:3]
	v_add_u32_e32 v2, 0x400, v2
	s_or_b64 s[6:7], vcc, s[6:7]
	ds_write_b32 v8, v3
	s_andn2_b64 exec, exec, s[6:7]
	s_cbranch_execnz .LBB18_17
.LBB18_18:
	s_or_b64 exec, exec, s[2:3]
	s_cmp_gt_i32 s33, 0
	s_mov_b32 s3, 0
	s_cselect_b64 s[30:31], -1, 0
	s_cmp_lt_i32 s33, 1
	s_mul_i32 s44, s24, s29
	s_waitcnt lgkmcnt(0)
	s_barrier
	s_cbranch_scc1 .LBB18_26
; %bb.19:
	s_lshl_b32 s0, s12, 3
	s_mov_b32 s2, s25
	s_add_i32 s13, s0, 0
	v_cmp_gt_i32_e32 vcc, s44, v0
	s_sub_i32 s27, 0, s24
	v_mad_u64_u32 v[2:3], s[0:1], v0, s25, 0
	s_lshl_b64 s[4:5], s[2:3], 8
	v_mov_b32_e32 v5, 0
	s_mov_b32 s2, 0
	s_branch .LBB18_21
.LBB18_20:                              ;   in Loop: Header=BB18_21 Depth=1
	s_or_b64 exec, exec, s[6:7]
	s_add_i32 s2, s2, s29
	s_add_i32 s3, s3, s44
	s_cmp_ge_i32 s2, s33
	s_barrier
	s_cbranch_scc1 .LBB18_26
.LBB18_21:                              ; =>This Loop Header: Depth=1
                                        ;     Child Loop BB18_24 Depth 2
	s_and_saveexec_b64 s[6:7], vcc
	s_cbranch_execz .LBB18_20
; %bb.22:                               ;   in Loop: Header=BB18_21 Depth=1
	s_mov_b64 s[8:9], 0
	v_pk_mov_b32 v[6:7], v[2:3], v[2:3] op_sel:[0,1]
	v_mov_b32_e32 v1, v0
	s_branch .LBB18_24
.LBB18_23:                              ;   in Loop: Header=BB18_24 Depth=2
	s_or_b64 exec, exec, s[10:11]
	v_add_u32_e32 v1, 0x100, v1
	v_cmp_le_i32_e64 s[0:1], s44, v1
	v_mov_b32_e32 v4, s5
	s_or_b64 s[8:9], s[0:1], s[8:9]
	v_add_co_u32_e64 v6, s[0:1], s4, v6
	v_addc_co_u32_e64 v7, s[0:1], v7, v4, s[0:1]
	s_waitcnt lgkmcnt(0)
	s_andn2_b64 exec, exec, s[8:9]
	s_cbranch_execz .LBB18_20
.LBB18_24:                              ;   Parent Loop BB18_21 Depth=1
                                        ; =>  This Inner Loop Header: Depth=2
	v_add_u32_e32 v4, v1, v7
	v_lshrrev_b32_e32 v8, s26, v4
	v_add_u32_e32 v4, s2, v8
	v_cmp_gt_i32_e64 s[0:1], s33, v4
	s_and_saveexec_b64 s[10:11], s[0:1]
	s_cbranch_execz .LBB18_23
; %bb.25:                               ;   in Loop: Header=BB18_24 Depth=2
	v_add_u32_e32 v4, s3, v1
	v_lshlrev_b64 v[10:11], 2, v[4:5]
	v_mov_b32_e32 v4, s37
	v_add_co_u32_e64 v10, s[0:1], s36, v10
	v_addc_co_u32_e64 v11, s[0:1], v4, v11, s[0:1]
	global_load_dword v4, v[10:11], off
	v_mul_lo_u32 v9, s27, v8
	v_mul_lo_u32 v8, v8, s12
	v_lshlrev_b32_e32 v8, 2, v8
	v_add3_u32 v9, v1, v9, 1
	s_waitcnt vmcnt(0)
	v_lshlrev_b32_e32 v4, 2, v4
	v_add3_u32 v4, s13, v4, v8
	ds_write_b32 v4, v9
	s_branch .LBB18_23
.LBB18_26:
	v_cmp_eq_u32_e32 vcc, 0, v0
	s_and_saveexec_b64 s[0:1], vcc
	s_cbranch_execz .LBB18_28
; %bb.27:
	v_mov_b32_e32 v1, 0
	ds_write_b32 v1, v1
.LBB18_28:
	s_or_b64 exec, exec, s[0:1]
	v_mbcnt_lo_u32_b32 v1, -1, 0
	v_and_b32_e32 v9, 7, v0
	v_mbcnt_hi_u32_b32 v12, -1, v1
	v_lshrrev_b32_e32 v8, 3, v0
	v_mul_lo_u32 v1, s12, v9
	v_cmp_gt_i32_e64 s[0:1], s28, v8
	v_lshlrev_b32_e32 v10, 2, v8
	v_lshlrev_b32_e32 v11, 2, v1
	s_and_saveexec_b64 s[26:27], s[0:1]
	s_cbranch_execz .LBB18_36
; %bb.29:
	s_cmp_gt_i32 s20, 2
	s_mul_i32 s6, s28, 0x68
	s_cselect_b64 s[4:5], -1, 0
	s_add_i32 s6, s6, 0
	v_add_u32_e32 v4, s6, v11
	s_mul_i32 s6, s28, 0x48
	s_add_i32 s6, s6, 0
	v_add_u32_e32 v5, s6, v11
	s_mul_i32 s6, s28, 40
	s_add_i32 s6, s6, 0
	v_add3_u32 v6, s6, v11, 40
	s_lshl_b32 s6, s28, 3
	v_lshlrev_b32_e32 v3, 2, v12
	s_lshl_b32 s20, s28, 7
	s_add_i32 s6, s6, 0
	v_cndmask_b32_e64 v13, 0, 1, s[4:5]
	v_xor_b32_e32 v1, 4, v3
	v_xor_b32_e32 v2, 8, v3
	v_xor_b32_e32 v3, 16, v3
	v_cmp_eq_u32_e64 s[2:3], 0, v9
	v_add_u32_e32 v4, 0x68, v4
	s_addk_i32 s20, 0x80
	v_add_u32_e32 v5, 0x48, v5
	v_add3_u32 v7, s6, v11, 8
	s_mov_b64 s[42:43], 0
	v_cmp_ne_u32_e64 s[4:5], 1, v13
	v_mov_b32_e32 v13, v8
	s_branch .LBB18_31
.LBB18_30:                              ;   in Loop: Header=BB18_31 Depth=1
	s_or_b64 exec, exec, s[6:7]
	v_add_u32_e32 v13, 32, v13
	v_cmp_le_i32_e32 vcc, s28, v13
	v_add_u32_e32 v4, 0x80, v4
	v_add_u32_e32 v5, 0x80, v5
	;; [unrolled: 1-line block ×3, first 2 shown]
	s_or_b64 s[42:43], vcc, s[42:43]
	v_add_u32_e32 v7, 0x80, v7
	s_andn2_b64 exec, exec, s[42:43]
	s_cbranch_execz .LBB18_36
.LBB18_31:                              ; =>This Loop Header: Depth=1
                                        ;     Child Loop BB18_33 Depth 2
	s_and_b64 vcc, exec, s[4:5]
	v_mov_b32_e32 v14, 0
	s_cbranch_vccnz .LBB18_34
; %bb.32:                               ;   in Loop: Header=BB18_31 Depth=1
	s_mov_b32 s25, 0
	v_mov_b32_e32 v14, 0
	v_mov_b32_e32 v15, v7
	;; [unrolled: 1-line block ×5, first 2 shown]
.LBB18_33:                              ;   Parent Loop BB18_31 Depth=1
                                        ; =>  This Inner Loop Header: Depth=2
	v_add_u32_e32 v19, v15, v10
	v_add_u32_e32 v20, v16, v10
	;; [unrolled: 1-line block ×4, first 2 shown]
	ds_read_b32 v19, v19
	ds_read_b32 v20, v20
	;; [unrolled: 1-line block ×4, first 2 shown]
	s_add_i32 s25, s25, 32
	s_waitcnt lgkmcnt(3)
	v_cmp_ne_u32_e32 vcc, 0, v19
	v_cndmask_b32_e64 v19, 0, 1, vcc
	s_waitcnt lgkmcnt(2)
	v_cmp_ne_u32_e64 s[6:7], 0, v20
	v_cndmask_b32_e64 v20, 0, 1, s[6:7]
	s_waitcnt lgkmcnt(1)
	v_cmp_ne_u32_e64 s[8:9], 0, v21
	ds_bpermute_b32 v19, v1, v19
	v_cndmask_b32_e64 v21, 0, 1, s[8:9]
	s_waitcnt lgkmcnt(1)
	v_cmp_ne_u32_e64 s[10:11], 0, v22
	ds_bpermute_b32 v20, v1, v20
	v_cndmask_b32_e64 v22, 0, 1, s[10:11]
	ds_bpermute_b32 v21, v1, v21
	ds_bpermute_b32 v22, v1, v22
	s_waitcnt lgkmcnt(3)
	v_addc_co_u32_e64 v23, s[12:13], 0, v19, vcc
	s_waitcnt lgkmcnt(2)
	v_addc_co_u32_e64 v24, s[12:13], 0, v20, s[6:7]
	ds_bpermute_b32 v23, v2, v23
	s_waitcnt lgkmcnt(2)
	v_addc_co_u32_e64 v25, s[12:13], 0, v21, s[8:9]
	ds_bpermute_b32 v24, v2, v24
	;; [unrolled: 3-line block ×3, first 2 shown]
	ds_bpermute_b32 v26, v2, v26
	s_waitcnt lgkmcnt(3)
	v_addc_co_u32_e32 v19, vcc, v23, v19, vcc
	s_waitcnt lgkmcnt(2)
	v_addc_co_u32_e64 v20, vcc, v24, v20, s[6:7]
	ds_bpermute_b32 v23, v3, v19
	s_waitcnt lgkmcnt(2)
	v_addc_co_u32_e64 v21, vcc, v25, v21, s[8:9]
	ds_bpermute_b32 v24, v3, v20
	s_waitcnt lgkmcnt(2)
	v_addc_co_u32_e64 v22, vcc, v26, v22, s[10:11]
	ds_bpermute_b32 v25, v3, v21
	ds_bpermute_b32 v26, v3, v22
	s_waitcnt lgkmcnt(3)
	v_add3_u32 v14, v19, v14, v23
	s_waitcnt lgkmcnt(2)
	v_add3_u32 v14, v14, v20, v24
	v_add_u32_e32 v18, s20, v18
	s_waitcnt lgkmcnt(1)
	v_add3_u32 v14, v14, v21, v25
	v_add_u32_e32 v17, s20, v17
	v_add_u32_e32 v16, s20, v16
	;; [unrolled: 1-line block ×3, first 2 shown]
	s_cmp_lt_i32 s25, s29
	s_waitcnt lgkmcnt(0)
	v_add3_u32 v14, v14, v22, v26
	s_cbranch_scc1 .LBB18_33
.LBB18_34:                              ;   in Loop: Header=BB18_31 Depth=1
	s_and_saveexec_b64 s[6:7], s[2:3]
	s_cbranch_execz .LBB18_30
; %bb.35:                               ;   in Loop: Header=BB18_31 Depth=1
	v_lshl_add_u32 v15, v13, 2, 0
	ds_write_b32 v15, v14 offset:4
	s_branch .LBB18_30
.LBB18_36:
	s_or_b64 exec, exec, s[26:27]
	s_cmp_lg_u32 s45, 0
	s_mov_b32 s10, 0
	s_waitcnt lgkmcnt(0)
	s_barrier
	s_cbranch_scc1 .LBB18_45
; %bb.37:
	s_cmp_lt_i32 s28, 1
	v_mov_b32_e32 v2, 0
	s_cbranch_scc1 .LBB18_42
; %bb.38:
	v_lshlrev_b32_e32 v2, 2, v12
	v_and_b32_e32 v3, 0xc0, v2
	v_cmp_eq_u32_e32 vcc, 0, v12
	s_add_i32 s11, s21, -1
	v_add_u32_e32 v1, -4, v3
	v_cmp_lt_u32_e64 s[2:3], 15, v12
	v_add_u32_e32 v3, 0xffffffbc, v3
	v_cmp_lt_u32_e64 s[4:5], 31, v12
	v_add3_u32 v4, v2, 0, 4
	s_branch .LBB18_40
.LBB18_39:                              ;   in Loop: Header=BB18_40 Depth=1
	s_or_b64 exec, exec, s[8:9]
	s_add_i32 s10, s10, 64
	s_cmp_lt_i32 s10, s28
	v_add_u32_e32 v4, 0x100, v4
	s_waitcnt lgkmcnt(0)
	s_cbranch_scc0 .LBB18_42
.LBB18_40:                              ; =>This Inner Loop Header: Depth=1
	ds_read_b32 v5, v4
	v_mov_b32_e32 v2, s10
	v_cndmask_b32_e32 v2, 0, v2, vcc
	v_lshl_add_u32 v2, v2, 2, 0
	ds_read_b32 v2, v2
	s_waitcnt lgkmcnt(1)
	v_add_u32_e32 v5, s11, v5
	v_mul_hi_u32 v6, v5, s22
	v_add_u32_e32 v5, v5, v6
	v_lshrrev_b32_e32 v5, s23, v5
	s_waitcnt lgkmcnt(0)
	v_mad_u64_u32 v[6:7], s[6:7], v5, s21, v[2:3]
	s_nop 1
	v_add_u32_dpp v2, v6, v6 row_shr:1 row_mask:0xf bank_mask:0xf bound_ctrl:1
	v_add_u32_e32 v6, s10, v12
	v_cmp_gt_i32_e64 s[6:7], s28, v6
	v_add_u32_dpp v2, v2, v2 row_shr:2 row_mask:0xf bank_mask:0xf bound_ctrl:1
	s_nop 1
	v_add_u32_dpp v2, v2, v2 row_shr:4 row_mask:0xf bank_mask:0xf bound_ctrl:1
	s_nop 1
	v_add_u32_dpp v2, v2, v2 row_shr:8 row_mask:0xf bank_mask:0xf bound_ctrl:1
	ds_bpermute_b32 v5, v1, v2
	s_waitcnt lgkmcnt(0)
	v_cndmask_b32_e64 v5, 0, v5, s[2:3]
	v_add_u32_e32 v2, v2, v5
	ds_bpermute_b32 v5, v3, v2
	s_waitcnt lgkmcnt(0)
	v_cndmask_b32_e64 v5, 0, v5, s[4:5]
	v_add_u32_e32 v2, v2, v5
	s_and_saveexec_b64 s[8:9], s[6:7]
	s_cbranch_execz .LBB18_39
; %bb.41:                               ;   in Loop: Header=BB18_40 Depth=1
	ds_write_b32 v4, v2
	s_branch .LBB18_39
.LBB18_42:
	v_add_u32_e32 v1, s10, v12
	v_subrev_u32_e32 v1, 63, v1
	v_cmp_eq_u32_e32 vcc, s28, v1
	s_and_saveexec_b64 s[2:3], vcc
	s_cbranch_execz .LBB18_44
; %bb.43:
	v_mov_b32_e32 v1, 0
	v_mov_b32_e32 v3, s33
	global_store_dwordx2 v1, v[2:3], s[40:41]
.LBB18_44:
	s_or_b64 exec, exec, s[2:3]
.LBB18_45:
	s_cmp_eq_u64 s[34:35], 0
	s_barrier
	s_cbranch_scc1 .LBB18_55
; %bb.46:
	s_mul_i32 s10, s33, s24
	v_cmp_gt_i32_e32 vcc, s10, v0
	s_and_saveexec_b64 s[4:5], vcc
	s_cbranch_execz .LBB18_54
; %bb.47:
	v_xad_u32 v1, v0, -1, s10
	s_movk_i32 s2, 0xff
	v_cmp_lt_u32_e32 vcc, s2, v1
	s_mov_b64 s[2:3], -1
	v_mov_b32_e32 v2, v0
	s_and_saveexec_b64 s[6:7], vcc
	s_cbranch_execz .LBB18_51
; %bb.48:
	v_lshrrev_b32_e32 v1, 8, v1
	v_add_u32_e32 v6, 1, v1
	v_and_b32_e32 v7, 0x1fffffe, v6
	v_add_u32_e32 v1, 0x100, v0
	s_mov_b64 s[8:9], 0
	v_mov_b32_e32 v13, s37
	v_mov_b32_e32 v14, s35
	;; [unrolled: 1-line block ×4, first 2 shown]
	v_pk_mov_b32 v[4:5], v[0:1], v[0:1] op_sel:[0,1]
.LBB18_49:                              ; =>This Inner Loop Header: Depth=1
	v_mov_b32_e32 v2, v4
	v_lshlrev_b64 v[16:17], 2, v[2:3]
	v_mov_b32_e32 v2, v5
	v_add_co_u32_e32 v18, vcc, s36, v16
	v_addc_co_u32_e32 v19, vcc, v13, v17, vcc
	v_lshlrev_b64 v[20:21], 2, v[2:3]
	v_add_co_u32_e32 v22, vcc, s36, v20
	v_addc_co_u32_e32 v23, vcc, v13, v21, vcc
	global_load_dword v1, v[18:19], off
	global_load_dword v2, v[22:23], off
	v_add_u32_e32 v15, -2, v15
	v_cmp_eq_u32_e32 vcc, 0, v15
	v_add_co_u32_e64 v16, s[2:3], s34, v16
	v_add_u32_e32 v4, 0x200, v4
	v_add_u32_e32 v5, 0x200, v5
	v_addc_co_u32_e64 v17, s[2:3], v14, v17, s[2:3]
	s_or_b64 s[8:9], vcc, s[8:9]
	v_add_co_u32_e32 v18, vcc, s34, v20
	v_addc_co_u32_e32 v19, vcc, v14, v21, vcc
	s_waitcnt vmcnt(1)
	global_store_dword v[16:17], v1, off
	s_waitcnt vmcnt(1)
	global_store_dword v[18:19], v2, off
	s_andn2_b64 exec, exec, s[8:9]
	s_cbranch_execnz .LBB18_49
; %bb.50:
	s_or_b64 exec, exec, s[8:9]
	v_cmp_ne_u32_e32 vcc, v6, v7
	v_lshl_add_u32 v2, v7, 8, v0
	s_orn2_b64 s[2:3], vcc, exec
.LBB18_51:
	s_or_b64 exec, exec, s[6:7]
	s_and_b64 exec, exec, s[2:3]
	s_cbranch_execz .LBB18_54
; %bb.52:
	v_mov_b32_e32 v3, 0
	v_lshlrev_b64 v[6:7], 2, v[2:3]
	v_mov_b32_e32 v1, s37
	v_add_co_u32_e32 v4, vcc, s36, v6
	v_addc_co_u32_e32 v5, vcc, v1, v7, vcc
	v_mov_b32_e32 v1, s35
	v_add_co_u32_e32 v6, vcc, s34, v6
	v_addc_co_u32_e32 v7, vcc, v1, v7, vcc
	s_mov_b64 s[2:3], 0
.LBB18_53:                              ; =>This Inner Loop Header: Depth=1
	global_load_dword v1, v[4:5], off
	v_add_co_u32_e32 v4, vcc, 0x400, v4
	v_add_u32_e32 v2, 0x100, v2
	v_addc_co_u32_e32 v5, vcc, 0, v5, vcc
	v_cmp_le_i32_e32 vcc, s10, v2
	s_or_b64 s[2:3], vcc, s[2:3]
	s_waitcnt vmcnt(0)
	global_store_dword v[6:7], v1, off
	v_add_co_u32_e32 v6, vcc, 0x400, v6
	v_addc_co_u32_e32 v7, vcc, 0, v7, vcc
	s_andn2_b64 exec, exec, s[2:3]
	s_cbranch_execnz .LBB18_53
.LBB18_54:
	s_or_b64 exec, exec, s[4:5]
	s_barrier
.LBB18_55:
	s_lshl_b32 s12, s28, 2
	s_add_i32 s13, s12, 0
	s_add_i32 s25, s13, 4
	v_cmp_gt_i32_e64 s[2:3], s28, v0
	s_and_saveexec_b64 s[4:5], s[2:3]
	s_cbranch_execz .LBB18_61
; %bb.56:
	s_mov_b64 s[6:7], 0
	v_mov_b32_e32 v3, 0
	v_mov_b32_e32 v1, v0
	s_branch .LBB18_58
.LBB18_57:                              ;   in Loop: Header=BB18_58 Depth=1
	s_or_b64 exec, exec, s[8:9]
	v_add_u32_e32 v1, 0x100, v1
	v_cmp_le_i32_e32 vcc, s28, v1
	s_or_b64 s[6:7], vcc, s[6:7]
	s_andn2_b64 exec, exec, s[6:7]
	s_cbranch_execz .LBB18_61
.LBB18_58:                              ; =>This Loop Header: Depth=1
                                        ;     Child Loop BB18_60 Depth 2
	v_lshlrev_b32_e32 v2, 2, v1
	v_add_u32_e32 v4, 0, v2
	ds_read2_b32 v[4:5], v4 offset1:1
	v_add_u32_e32 v2, s25, v2
	s_waitcnt lgkmcnt(0)
	v_cmp_lt_i32_e32 vcc, v4, v5
	ds_write_b32 v2, v4
	s_and_saveexec_b64 s[8:9], vcc
	s_cbranch_execz .LBB18_57
; %bb.59:                               ;   in Loop: Header=BB18_58 Depth=1
	s_mov_b64 s[10:11], 0
.LBB18_60:                              ;   Parent Loop BB18_58 Depth=1
                                        ; =>  This Inner Loop Header: Depth=2
	v_mul_hi_u32 v2, s22, v4
	v_add_u32_e32 v2, v4, v2
	v_add_u32_e32 v4, s21, v4
	v_lshrrev_b32_e32 v2, s23, v2
	v_cmp_ge_i32_e32 vcc, v4, v5
	v_lshlrev_b64 v[6:7], 2, v[2:3]
	v_mov_b32_e32 v13, s19
	s_or_b64 s[10:11], vcc, s[10:11]
	v_add_co_u32_e32 v6, vcc, s18, v6
	v_addc_co_u32_e32 v7, vcc, v13, v7, vcc
	global_store_dword v[6:7], v1, off
	s_andn2_b64 exec, exec, s[10:11]
	s_cbranch_execnz .LBB18_60
	s_branch .LBB18_57
.LBB18_61:
	s_or_b64 exec, exec, s[4:5]
	v_mov_b32_e32 v1, s13
	s_waitcnt lgkmcnt(0)
	s_barrier
	ds_read_b32 v1, v1
	s_add_i32 s4, s13, s12
	v_mov_b32_e32 v2, s4
	s_andn2_b64 vcc, exec, s[30:31]
	s_waitcnt lgkmcnt(0)
	ds_write_b32 v2, v1 offset:4
	s_cbranch_vccnz .LBB18_73
; %bb.62:
	s_add_u32 s23, s14, -4
	s_addc_u32 s26, s15, -1
	s_add_u32 s27, s38, -4
	s_addc_u32 s30, s39, -1
	;; [unrolled: 2-line block ×3, first 2 shown]
	s_lshl_b32 s6, s28, 3
	v_and_b32_e32 v1, 8, v12
	v_add3_u32 v3, v11, s6, v10
	s_lshl_b32 s36, s28, 5
	v_cmp_gt_i32_e32 vcc, s29, v9
	s_mov_b32 s22, 0
	v_cmp_eq_u32_e64 s[4:5], 0, v1
	v_lshl_or_b32 v1, v0, 2, 28
	v_mul_lo_u32 v2, s24, v9
	s_lshl_b32 s35, s24, 3
	v_add3_u32 v3, v3, 0, 8
	s_add_i32 s36, s36, 32
	s_mov_b32 s37, 0x4020100
	s_branch .LBB18_64
.LBB18_63:                              ;   in Loop: Header=BB18_64 Depth=1
	s_or_b64 exec, exec, s[10:11]
	s_add_i32 s22, s22, s29
	s_cmp_ge_i32 s22, s33
	v_add_u32_e32 v2, s44, v2
	s_waitcnt lgkmcnt(0)
	s_barrier
	s_cbranch_scc1 .LBB18_73
.LBB18_64:                              ; =>This Loop Header: Depth=1
                                        ;     Child Loop BB18_68 Depth 2
                                        ;       Child Loop BB18_71 Depth 3
	s_and_saveexec_b64 s[10:11], s[0:1]
	s_cbranch_execz .LBB18_63
; %bb.65:                               ;   in Loop: Header=BB18_64 Depth=1
	s_mov_b64 s[12:13], 0
	v_mov_b32_e32 v4, v3
	v_mov_b32_e32 v5, v8
	s_branch .LBB18_68
.LBB18_66:                              ;   in Loop: Header=BB18_68 Depth=2
	s_or_b64 exec, exec, s[20:21]
.LBB18_67:                              ;   in Loop: Header=BB18_68 Depth=2
	s_or_b64 exec, exec, s[18:19]
	v_add_u32_e32 v5, 32, v5
	v_cmp_le_i32_e64 s[6:7], s28, v5
	s_or_b64 s[12:13], s[6:7], s[12:13]
	v_add_u32_e32 v4, 0x80, v4
	s_waitcnt lgkmcnt(0)
	ds_write_b32 v6, v7
	s_andn2_b64 exec, exec, s[12:13]
	s_cbranch_execz .LBB18_63
.LBB18_68:                              ;   Parent Loop BB18_64 Depth=1
                                        ; =>  This Loop Header: Depth=2
                                        ;       Child Loop BB18_71 Depth 3
	v_lshl_add_u32 v6, v5, 2, 0
	ds_read_b32 v7, v6
	s_and_saveexec_b64 s[18:19], vcc
	s_cbranch_execz .LBB18_67
; %bb.69:                               ;   in Loop: Header=BB18_68 Depth=2
	s_mov_b64 s[20:21], 0
	v_mov_b32_e32 v10, v4
	v_mov_b32_e32 v11, v2
	;; [unrolled: 1-line block ×3, first 2 shown]
	s_branch .LBB18_71
.LBB18_70:                              ;   in Loop: Header=BB18_71 Depth=3
	s_or_b64 exec, exec, s[8:9]
	ds_bpermute_b32 v13, v1, v13
	v_add_u32_e32 v12, 8, v12
	v_cmp_le_i32_e64 s[6:7], s29, v12
	v_add_u32_e32 v11, s35, v11
	s_or_b64 s[20:21], s[6:7], s[20:21]
	s_waitcnt lgkmcnt(0)
	v_add_u32_e32 v7, v13, v7
	v_add_u32_e32 v10, s36, v10
	s_andn2_b64 exec, exec, s[20:21]
	s_cbranch_execz .LBB18_66
.LBB18_71:                              ;   Parent Loop BB18_64 Depth=1
                                        ;     Parent Loop BB18_68 Depth=2
                                        ; =>    This Inner Loop Header: Depth=3
	ds_read_b32 v14, v10
	s_waitcnt lgkmcnt(0)
	v_cmp_ne_u32_e64 s[6:7], 0, v14
	v_cndmask_b32_e64 v13, 0, 1, s[6:7]
	s_nop 1
	v_mov_b32_dpp v13, v13 row_shr:1 row_mask:0xf bank_mask:0xf bound_ctrl:1
	v_addc_co_u32_e64 v15, s[8:9], 0, v13, s[6:7]
	s_nop 1
	v_mov_b32_dpp v15, v15 row_shr:2 row_mask:0xf bank_mask:0xf bound_ctrl:1
	v_addc_co_u32_e64 v13, s[8:9], v15, v13, s[6:7]
	s_nop 1
	v_add_u32_dpp v13, v13, v13 row_shr:4 row_mask:0xf bank_mask:0xf bound_ctrl:1
	s_nop 1
	v_add_u32_dpp v13, v13, v13 row_shr:8 row_mask:0xf bank_mask:0xf bound_ctrl:1
	s_nop 1
	v_mov_b32_dpp v15, v13 row_newbcast:7 row_mask:0xf bank_mask:0xf bound_ctrl:1
	v_cndmask_b32_e64 v15, v15, 0, s[4:5]
	v_sub_u32_e32 v13, v13, v15
	s_and_saveexec_b64 s[8:9], s[6:7]
	s_cbranch_execz .LBB18_70
; %bb.72:                               ;   in Loop: Header=BB18_71 Depth=3
	v_add_u32_e32 v16, v11, v14
	v_ashrrev_i32_e32 v17, 31, v16
	v_lshlrev_b64 v[16:17], 2, v[16:17]
	v_mov_b32_e32 v15, s30
	v_add_co_u32_e64 v16, s[6:7], s27, v16
	v_addc_co_u32_e64 v17, s[6:7], v15, v17, s[6:7]
	global_load_dword v18, v[16:17], off
	v_add_u32_e32 v15, s22, v12
	v_perm_b32 v14, v14, v15, s37
	v_add_u32_e32 v19, 0xff000000, v14
	v_add_u32_e32 v14, v13, v7
	v_ashrrev_i32_e32 v15, 31, v14
	v_lshlrev_b64 v[14:15], 2, v[14:15]
	v_mov_b32_e32 v17, s26
	v_add_co_u32_e64 v16, s[6:7], s23, v14
	v_addc_co_u32_e64 v17, s[6:7], v17, v15, s[6:7]
	global_store_dword v[16:17], v19, off
	v_mov_b32_e32 v16, s34
	v_add_co_u32_e64 v14, s[6:7], s31, v14
	v_addc_co_u32_e64 v15, s[6:7], v16, v15, s[6:7]
	s_waitcnt vmcnt(1)
	global_store_dword v[14:15], v18, off
	s_branch .LBB18_70
.LBB18_73:
	s_and_saveexec_b64 s[0:1], s[2:3]
	s_cbranch_execz .LBB18_84
; %bb.74:
	s_and_b32 s0, s33, 0xffffff
	s_lshl_b32 s1, s24, 24
	s_or_b32 s4, s0, s1
	s_mov_b32 s5, s4
	s_add_i32 s25, s25, 4
	s_mov_b64 s[2:3], 0
	s_mov_b32 s8, 0
	v_mov_b32_e32 v1, 0
	s_branch .LBB18_76
.LBB18_75:                              ;   in Loop: Header=BB18_76 Depth=1
	s_or_b64 exec, exec, s[12:13]
	v_add_u32_e32 v0, 0x100, v0
	v_cmp_le_i32_e32 vcc, s28, v0
	s_or_b64 s[2:3], vcc, s[2:3]
	s_andn2_b64 exec, exec, s[2:3]
	s_cbranch_execz .LBB18_84
.LBB18_76:                              ; =>This Loop Header: Depth=1
                                        ;     Child Loop BB18_79 Depth 2
                                        ;     Child Loop BB18_83 Depth 2
	v_lshlrev_b32_e32 v2, 2, v0
	v_add_u32_e32 v3, 0, v2
	v_add_u32_e32 v4, s25, v2
	ds_read_b32 v2, v3
	ds_read_b32 v8, v4
	s_waitcnt lgkmcnt(0)
	v_cmp_gt_i32_e32 vcc, v8, v2
	s_and_saveexec_b64 s[12:13], vcc
	s_cbranch_execz .LBB18_75
; %bb.77:                               ;   in Loop: Header=BB18_76 Depth=1
	v_sub_u32_e32 v3, v8, v2
	v_cmp_lt_u32_e32 vcc, 15, v3
	s_mov_b64 s[6:7], -1
	s_and_saveexec_b64 s[0:1], vcc
	s_cbranch_execz .LBB18_81
; %bb.78:                               ;   in Loop: Header=BB18_76 Depth=1
	v_and_b32_e32 v6, -16, v3
	s_mov_b64 s[18:19], 0
	v_mov_b32_e32 v4, v2
	v_mov_b32_e32 v7, v6
.LBB18_79:                              ;   Parent Loop BB18_76 Depth=1
                                        ; =>  This Inner Loop Header: Depth=2
	v_ashrrev_i32_e32 v5, 31, v4
	v_lshlrev_b64 v[14:15], 2, v[4:5]
	v_mov_b32_e32 v5, s15
	v_add_co_u32_e32 v16, vcc, s14, v14
	v_addc_co_u32_e32 v17, vcc, v5, v15, vcc
	s_mov_b32 s6, s4
	s_mov_b32 s7, s5
	v_pk_mov_b32 v[12:13], s[6:7], s[6:7] op_sel:[0,1]
	v_mov_b32_e32 v5, s17
	v_add_co_u32_e32 v14, vcc, s16, v14
	v_pk_mov_b32 v[10:11], s[4:5], s[4:5] op_sel:[0,1]
	v_addc_co_u32_e32 v15, vcc, v5, v15, vcc
	s_mov_b32 s10, s8
	s_mov_b32 s11, s8
	v_add_u32_e32 v7, -16, v7
	global_store_dwordx4 v[16:17], v[10:13], off
	global_store_dwordx4 v[16:17], v[10:13], off offset:16
	global_store_dwordx4 v[16:17], v[10:13], off offset:32
	;; [unrolled: 1-line block ×3, first 2 shown]
	s_mov_b32 s9, s8
	v_pk_mov_b32 v[12:13], s[10:11], s[10:11] op_sel:[0,1]
	v_cmp_eq_u32_e32 vcc, 0, v7
	v_pk_mov_b32 v[10:11], s[8:9], s[8:9] op_sel:[0,1]
	s_or_b64 s[18:19], vcc, s[18:19]
	v_add_u32_e32 v4, 16, v4
	global_store_dwordx4 v[14:15], v[10:13], off
	global_store_dwordx4 v[14:15], v[10:13], off offset:16
	global_store_dwordx4 v[14:15], v[10:13], off offset:32
	;; [unrolled: 1-line block ×3, first 2 shown]
	s_andn2_b64 exec, exec, s[18:19]
	s_cbranch_execnz .LBB18_79
; %bb.80:                               ;   in Loop: Header=BB18_76 Depth=1
	s_or_b64 exec, exec, s[18:19]
	v_cmp_ne_u32_e32 vcc, v3, v6
	v_add_u32_e32 v2, v2, v6
	s_orn2_b64 s[6:7], vcc, exec
.LBB18_81:                              ;   in Loop: Header=BB18_76 Depth=1
	s_or_b64 exec, exec, s[0:1]
	s_and_b64 exec, exec, s[6:7]
	s_cbranch_execz .LBB18_75
; %bb.82:                               ;   in Loop: Header=BB18_76 Depth=1
	v_ashrrev_i32_e32 v3, 31, v2
	v_lshlrev_b64 v[6:7], 2, v[2:3]
	v_mov_b32_e32 v3, s15
	v_add_co_u32_e32 v4, vcc, s14, v6
	v_addc_co_u32_e32 v5, vcc, v3, v7, vcc
	v_mov_b32_e32 v3, s17
	v_add_co_u32_e32 v6, vcc, s16, v6
	v_addc_co_u32_e32 v7, vcc, v3, v7, vcc
	s_mov_b64 s[6:7], 0
.LBB18_83:                              ;   Parent Loop BB18_76 Depth=1
                                        ; =>  This Inner Loop Header: Depth=2
	global_store_dword v[6:7], v1, off
	v_add_co_u32_e32 v6, vcc, 4, v6
	v_mov_b32_e32 v3, s4
	v_add_u32_e32 v2, 1, v2
	v_addc_co_u32_e32 v7, vcc, 0, v7, vcc
	global_store_dword v[4:5], v3, off
	v_cmp_ge_i32_e32 vcc, v2, v8
	v_add_co_u32_e64 v4, s[0:1], 4, v4
	s_or_b64 s[6:7], vcc, s[6:7]
	v_addc_co_u32_e64 v5, vcc, 0, v5, s[0:1]
	s_andn2_b64 exec, exec, s[6:7]
	s_cbranch_execnz .LBB18_83
	s_branch .LBB18_75
.LBB18_84:
	s_endpgm
	.section	.rodata,"a",@progbits
	.p2align	6, 0x0
	.amdhsa_kernel _ZN5aiter22opus_moe_sorting_entryINS_16MoeSortingKernelINS_19MoeSortingProblemExIifLi4ELb1ELb0ELb1ELb1ELi0EEEEENS4_5KargsEEEvT0_
		.amdhsa_group_segment_fixed_size 0
		.amdhsa_private_segment_fixed_size 0
		.amdhsa_kernarg_size 400
		.amdhsa_user_sgpr_count 6
		.amdhsa_user_sgpr_private_segment_buffer 1
		.amdhsa_user_sgpr_dispatch_ptr 0
		.amdhsa_user_sgpr_queue_ptr 0
		.amdhsa_user_sgpr_kernarg_segment_ptr 1
		.amdhsa_user_sgpr_dispatch_id 0
		.amdhsa_user_sgpr_flat_scratch_init 0
		.amdhsa_user_sgpr_kernarg_preload_length 0
		.amdhsa_user_sgpr_kernarg_preload_offset 0
		.amdhsa_user_sgpr_private_segment_size 0
		.amdhsa_uses_dynamic_stack 0
		.amdhsa_system_sgpr_private_segment_wavefront_offset 0
		.amdhsa_system_sgpr_workgroup_id_x 1
		.amdhsa_system_sgpr_workgroup_id_y 0
		.amdhsa_system_sgpr_workgroup_id_z 0
		.amdhsa_system_sgpr_workgroup_info 0
		.amdhsa_system_vgpr_workitem_id 0
		.amdhsa_next_free_vgpr 27
		.amdhsa_next_free_sgpr 46
		.amdhsa_accum_offset 28
		.amdhsa_reserve_vcc 1
		.amdhsa_reserve_flat_scratch 0
		.amdhsa_float_round_mode_32 0
		.amdhsa_float_round_mode_16_64 0
		.amdhsa_float_denorm_mode_32 3
		.amdhsa_float_denorm_mode_16_64 3
		.amdhsa_dx10_clamp 1
		.amdhsa_ieee_mode 1
		.amdhsa_fp16_overflow 0
		.amdhsa_tg_split 0
		.amdhsa_exception_fp_ieee_invalid_op 0
		.amdhsa_exception_fp_denorm_src 0
		.amdhsa_exception_fp_ieee_div_zero 0
		.amdhsa_exception_fp_ieee_overflow 0
		.amdhsa_exception_fp_ieee_underflow 0
		.amdhsa_exception_fp_ieee_inexact 0
		.amdhsa_exception_int_div_zero 0
	.end_amdhsa_kernel
	.section	.text._ZN5aiter22opus_moe_sorting_entryINS_16MoeSortingKernelINS_19MoeSortingProblemExIifLi4ELb1ELb0ELb1ELb1ELi0EEEEENS4_5KargsEEEvT0_,"axG",@progbits,_ZN5aiter22opus_moe_sorting_entryINS_16MoeSortingKernelINS_19MoeSortingProblemExIifLi4ELb1ELb0ELb1ELb1ELi0EEEEENS4_5KargsEEEvT0_,comdat
.Lfunc_end18:
	.size	_ZN5aiter22opus_moe_sorting_entryINS_16MoeSortingKernelINS_19MoeSortingProblemExIifLi4ELb1ELb0ELb1ELb1ELi0EEEEENS4_5KargsEEEvT0_, .Lfunc_end18-_ZN5aiter22opus_moe_sorting_entryINS_16MoeSortingKernelINS_19MoeSortingProblemExIifLi4ELb1ELb0ELb1ELb1ELi0EEEEENS4_5KargsEEEvT0_
                                        ; -- End function
	.section	.AMDGPU.csdata,"",@progbits
; Kernel info:
; codeLenInByte = 3896
; NumSgprs: 50
; NumVgprs: 27
; NumAgprs: 0
; TotalNumVgprs: 27
; ScratchSize: 0
; MemoryBound: 0
; FloatMode: 240
; IeeeMode: 1
; LDSByteSize: 0 bytes/workgroup (compile time only)
; SGPRBlocks: 6
; VGPRBlocks: 3
; NumSGPRsForWavesPerEU: 50
; NumVGPRsForWavesPerEU: 27
; AccumOffset: 28
; Occupancy: 8
; WaveLimiterHint : 1
; COMPUTE_PGM_RSRC2:SCRATCH_EN: 0
; COMPUTE_PGM_RSRC2:USER_SGPR: 6
; COMPUTE_PGM_RSRC2:TRAP_HANDLER: 0
; COMPUTE_PGM_RSRC2:TGID_X_EN: 1
; COMPUTE_PGM_RSRC2:TGID_Y_EN: 0
; COMPUTE_PGM_RSRC2:TGID_Z_EN: 0
; COMPUTE_PGM_RSRC2:TIDIG_COMP_CNT: 0
; COMPUTE_PGM_RSRC3_GFX90A:ACCUM_OFFSET: 6
; COMPUTE_PGM_RSRC3_GFX90A:TG_SPLIT: 0
	.section	.text._ZN5aiter22opus_moe_sorting_entryINS_16MoeSortingKernelINS_19MoeSortingProblemExIifLi2ELb1ELb0ELb1ELb1ELi0EEEEENS4_5KargsEEEvT0_,"axG",@progbits,_ZN5aiter22opus_moe_sorting_entryINS_16MoeSortingKernelINS_19MoeSortingProblemExIifLi2ELb1ELb0ELb1ELb1ELi0EEEEENS4_5KargsEEEvT0_,comdat
	.protected	_ZN5aiter22opus_moe_sorting_entryINS_16MoeSortingKernelINS_19MoeSortingProblemExIifLi2ELb1ELb0ELb1ELb1ELi0EEEEENS4_5KargsEEEvT0_ ; -- Begin function _ZN5aiter22opus_moe_sorting_entryINS_16MoeSortingKernelINS_19MoeSortingProblemExIifLi2ELb1ELb0ELb1ELb1ELi0EEEEENS4_5KargsEEEvT0_
	.globl	_ZN5aiter22opus_moe_sorting_entryINS_16MoeSortingKernelINS_19MoeSortingProblemExIifLi2ELb1ELb0ELb1ELb1ELi0EEEEENS4_5KargsEEEvT0_
	.p2align	8
	.type	_ZN5aiter22opus_moe_sorting_entryINS_16MoeSortingKernelINS_19MoeSortingProblemExIifLi2ELb1ELb0ELb1ELb1ELi0EEEEENS4_5KargsEEEvT0_,@function
_ZN5aiter22opus_moe_sorting_entryINS_16MoeSortingKernelINS_19MoeSortingProblemExIifLi2ELb1ELb0ELb1ELb1ELi0EEEEENS4_5KargsEEEvT0_: ; @_ZN5aiter22opus_moe_sorting_entryINS_16MoeSortingKernelINS_19MoeSortingProblemExIifLi2ELb1ELb0ELb1ELb1ELi0EEEEENS4_5KargsEEEvT0_
; %bb.0:
	s_load_dwordx8 s[8:15], s[4:5], 0x18
	s_load_dwordx4 s[36:39], s[4:5], 0x38
	s_load_dwordx2 s[34:35], s[4:5], 0x48
	s_load_dwordx4 s[24:27], s[4:5], 0x54
	s_cmp_eq_u32 s6, 0
	s_waitcnt lgkmcnt(0)
	s_load_dword s33, s[8:9], 0x0
	s_cbranch_scc1 .LBB19_7
; %bb.1:
	s_cmp_eq_u64 s[38:39], 0
	s_mov_b64 s[2:3], 0
	s_cbranch_scc1 .LBB19_6
; %bb.2:
	s_waitcnt lgkmcnt(0)
	s_ashr_i32 s0, s33, 31
	s_mul_i32 s7, s26, s25
	s_mul_hi_i32 s1, s26, s25
	s_mul_i32 s0, s7, s0
	s_mul_hi_u32 s8, s7, s33
	s_add_i32 s0, s8, s0
	s_mul_i32 s1, s1, s33
	s_add_i32 s1, s0, s1
	s_mul_i32 s0, s7, s33
	s_ashr_i32 s7, s1, 31
	s_lshr_b32 s8, s7, 28
	s_add_u32 s0, s0, s8
	s_addc_u32 s1, s1, 0
	v_lshl_add_u32 v1, s6, 8, v0
	s_ashr_i64 s[8:9], s[0:1], 4
	v_add_u32_e32 v2, 0xffffff00, v1
	v_mov_b32_e32 v3, 0
	s_mov_b32 s7, 0
	v_cmp_gt_i64_e32 vcc, s[8:9], v[2:3]
	s_and_saveexec_b64 s[16:17], vcc
	s_cbranch_execz .LBB19_5
; %bb.3:
	s_load_dword s0, s[4:5], 0x90
	v_lshlrev_b64 v[4:5], 4, v[2:3]
	v_mov_b32_e32 v1, s39
	v_add_co_u32_e32 v8, vcc, s38, v4
	s_waitcnt lgkmcnt(0)
	s_lshl_b32 s0, s0, 8
	s_add_i32 s6, s0, 0xffffff00
	s_lshl_b64 s[18:19], s[6:7], 4
	v_pk_mov_b32 v[6:7], v[2:3], v[2:3] op_sel:[0,1]
	v_addc_co_u32_e32 v9, vcc, v1, v5, vcc
	s_mov_b64 s[20:21], 0
	v_mov_b32_e32 v2, v3
	v_mov_b32_e32 v4, v3
	;; [unrolled: 1-line block ×5, first 2 shown]
.LBB19_4:                               ; =>This Inner Loop Header: Depth=1
	v_add_co_u32_e32 v6, vcc, s6, v6
	v_addc_co_u32_e32 v7, vcc, v7, v1, vcc
	global_store_dwordx4 v[8:9], v[2:5], off
	v_add_co_u32_e32 v8, vcc, s18, v8
	v_cmp_le_i64_e64 s[0:1], s[8:9], v[6:7]
	s_or_b64 s[20:21], s[0:1], s[20:21]
	v_addc_co_u32_e32 v9, vcc, v9, v10, vcc
	s_andn2_b64 exec, exec, s[20:21]
	s_cbranch_execnz .LBB19_4
.LBB19_5:
	s_or_b64 exec, exec, s[16:17]
.LBB19_6:
	s_andn2_b64 vcc, exec, s[2:3]
	s_cbranch_vccz .LBB19_8
	s_branch .LBB19_84
.LBB19_7:
.LBB19_8:
	s_load_dwordx8 s[16:23], s[4:5], 0x64
	s_load_dwordx4 s[28:31], s[4:5], 0x0
	s_load_dwordx2 s[0:1], s[4:5], 0x84
	v_lshrrev_b32_e32 v1, 6, v0
	v_readfirstlane_b32 s41, v1
	s_waitcnt lgkmcnt(0)
	s_add_i32 s25, s16, -2
	s_mul_i32 s26, s25, s24
	s_add_i32 s42, s24, 1
	v_cmp_gt_i32_e32 vcc, s26, v0
	s_and_saveexec_b64 s[2:3], vcc
	s_cbranch_execz .LBB19_18
; %bb.9:
	v_xad_u32 v2, v0, -1, s26
	s_movk_i32 s6, 0xff
	s_mov_b32 s5, 0
	s_mov_b32 s4, s0
	s_sub_i32 s0, s42, s23
	v_cmp_lt_u32_e32 vcc, s6, v2
	s_mov_b64 s[8:9], 0
                                        ; implicit-def: $vgpr1
                                        ; implicit-def: $sgpr23
	s_and_saveexec_b64 s[6:7], vcc
	s_xor_b64 s[6:7], exec, s[6:7]
	s_cbranch_execnz .LBB19_12
; %bb.10:
	s_or_saveexec_b64 s[6:7], s[6:7]
	v_mov_b32_e32 v2, s23
	s_xor_b64 exec, exec, s[6:7]
	s_cbranch_execnz .LBB19_15
.LBB19_11:
	s_or_b64 exec, exec, s[6:7]
	s_and_b64 exec, exec, s[8:9]
	s_cbranch_execnz .LBB19_16
	s_branch .LBB19_18
.LBB19_12:
	v_lshrrev_b32_e32 v1, 8, v2
	v_add_u32_e32 v4, 1, v1
	s_lshl_b32 s23, s24, 3
	v_and_b32_e32 v5, 0x1fffffe, v4
	v_add_u32_e32 v1, 0x100, v0
	s_add_i32 s8, s23, 0
	s_mov_b32 s27, s4
	s_mov_b32 s38, s1
	;; [unrolled: 1-line block ×3, first 2 shown]
	v_lshl_add_u32 v6, v0, 2, s8
	s_mov_b64 s[8:9], 0
	v_mov_b32_e32 v7, 0
	v_mov_b32_e32 v8, v5
	v_pk_mov_b32 v[2:3], v[0:1], v[0:1] op_sel:[0,1]
.LBB19_13:                              ; =>This Inner Loop Header: Depth=1
	v_mul_hi_u32 v1, s4, v2
	v_mul_hi_u32 v9, s27, v3
	v_add_u32_e32 v9, v3, v9
	v_add_u32_e32 v1, v2, v1
	v_add_u32_e32 v8, -2, v8
	v_lshrrev_b32_e32 v1, s38, v1
	v_lshrrev_b32_e32 v9, s1, v9
	v_cmp_eq_u32_e32 vcc, 0, v8
	v_mul_lo_u32 v9, v9, s39
	v_mul_lo_u32 v1, v1, s0
	v_add_u32_e32 v3, 0x200, v3
	v_add_u32_e32 v2, 0x200, v2
	s_or_b64 s[8:9], vcc, s[8:9]
	v_lshl_add_u32 v1, v1, 2, v6
	v_lshl_add_u32 v9, v9, 2, v6
	v_add_u32_e32 v6, 0x800, v6
	ds_write_b32 v1, v7 offset:8
	ds_write_b32 v9, v7 offset:1032
	s_andn2_b64 exec, exec, s[8:9]
	s_cbranch_execnz .LBB19_13
; %bb.14:
	s_or_b64 exec, exec, s[8:9]
	v_cmp_ne_u32_e32 vcc, v4, v5
	v_lshl_add_u32 v1, v5, 8, v0
	s_and_b64 s[8:9], vcc, exec
	s_or_saveexec_b64 s[6:7], s[6:7]
	v_mov_b32_e32 v2, s23
	s_xor_b64 exec, exec, s[6:7]
	s_cbranch_execz .LBB19_11
.LBB19_15:
	s_lshl_b32 s23, s24, 3
	v_mov_b32_e32 v2, s23
	s_or_b64 s[8:9], s[8:9], exec
	v_mov_b32_e32 v1, v0
	s_or_b64 exec, exec, s[6:7]
	s_and_b64 exec, exec, s[8:9]
	s_cbranch_execz .LBB19_18
.LBB19_16:
	v_lshl_add_u32 v2, v1, 2, v2
	v_mad_u64_u32 v[4:5], s[6:7], v1, s4, 0
	s_lshl_b64 s[4:5], s[4:5], 8
	s_lshl_b32 s0, s0, 2
	v_add3_u32 v2, v2, 0, 8
	s_mov_b64 s[6:7], 0
	v_mov_b32_e32 v3, 0
	v_mov_b32_e32 v6, s5
.LBB19_17:                              ; =>This Inner Loop Header: Depth=1
	v_add_co_u32_e32 v4, vcc, s4, v4
	v_add_u32_e32 v7, v1, v5
	v_add_u32_e32 v1, 0x100, v1
	v_addc_co_u32_e32 v5, vcc, v5, v6, vcc
	v_lshrrev_b32_e32 v7, s1, v7
	v_cmp_le_i32_e32 vcc, s26, v1
	v_mad_u64_u32 v[8:9], s[8:9], s0, v7, v[2:3]
	v_add_u32_e32 v2, 0x400, v2
	s_or_b64 s[6:7], vcc, s[6:7]
	ds_write_b32 v8, v3
	s_andn2_b64 exec, exec, s[6:7]
	s_cbranch_execnz .LBB19_17
.LBB19_18:
	s_or_b64 exec, exec, s[2:3]
	s_cmp_gt_i32 s33, 0
	s_mov_b32 s3, 0
	s_cselect_b64 s[26:27], -1, 0
	s_cmp_lt_i32 s33, 1
	s_mul_i32 s40, s20, s25
	s_waitcnt lgkmcnt(0)
	s_barrier
	s_cbranch_scc1 .LBB19_26
; %bb.19:
	s_lshl_b32 s0, s42, 3
	s_mov_b32 s2, s21
	s_add_i32 s23, s0, 0
	v_cmp_gt_i32_e32 vcc, s40, v0
	s_sub_i32 s43, 0, s20
	v_mad_u64_u32 v[2:3], s[0:1], v0, s21, 0
	s_lshl_b64 s[4:5], s[2:3], 8
	v_mov_b32_e32 v5, 0
	s_mov_b32 s2, 0
	s_branch .LBB19_21
.LBB19_20:                              ;   in Loop: Header=BB19_21 Depth=1
	s_or_b64 exec, exec, s[6:7]
	s_add_i32 s2, s2, s25
	s_add_i32 s3, s3, s40
	s_cmp_ge_i32 s2, s33
	s_barrier
	s_cbranch_scc1 .LBB19_26
.LBB19_21:                              ; =>This Loop Header: Depth=1
                                        ;     Child Loop BB19_24 Depth 2
	s_and_saveexec_b64 s[6:7], vcc
	s_cbranch_execz .LBB19_20
; %bb.22:                               ;   in Loop: Header=BB19_21 Depth=1
	s_mov_b64 s[8:9], 0
	v_pk_mov_b32 v[6:7], v[2:3], v[2:3] op_sel:[0,1]
	v_mov_b32_e32 v1, v0
	s_branch .LBB19_24
.LBB19_23:                              ;   in Loop: Header=BB19_24 Depth=2
	s_or_b64 exec, exec, s[38:39]
	v_add_u32_e32 v1, 0x100, v1
	v_cmp_le_i32_e64 s[0:1], s40, v1
	v_mov_b32_e32 v4, s5
	s_or_b64 s[8:9], s[0:1], s[8:9]
	v_add_co_u32_e64 v6, s[0:1], s4, v6
	v_addc_co_u32_e64 v7, s[0:1], v7, v4, s[0:1]
	s_waitcnt lgkmcnt(0)
	s_andn2_b64 exec, exec, s[8:9]
	s_cbranch_execz .LBB19_20
.LBB19_24:                              ;   Parent Loop BB19_21 Depth=1
                                        ; =>  This Inner Loop Header: Depth=2
	v_add_u32_e32 v4, v1, v7
	v_lshrrev_b32_e32 v8, s22, v4
	v_add_u32_e32 v4, s2, v8
	v_cmp_gt_i32_e64 s[0:1], s33, v4
	s_and_saveexec_b64 s[38:39], s[0:1]
	s_cbranch_execz .LBB19_23
; %bb.25:                               ;   in Loop: Header=BB19_24 Depth=2
	v_add_u32_e32 v4, s3, v1
	v_lshlrev_b64 v[10:11], 2, v[4:5]
	v_mov_b32_e32 v4, s29
	v_add_co_u32_e64 v10, s[0:1], s28, v10
	v_addc_co_u32_e64 v11, s[0:1], v4, v11, s[0:1]
	global_load_dword v4, v[10:11], off
	v_mul_lo_u32 v9, s43, v8
	v_mul_lo_u32 v8, v8, s42
	v_lshlrev_b32_e32 v8, 2, v8
	v_add3_u32 v9, v1, v9, 1
	s_waitcnt vmcnt(0)
	v_lshlrev_b32_e32 v4, 2, v4
	v_add3_u32 v4, s23, v4, v8
	ds_write_b32 v4, v9
	s_branch .LBB19_23
.LBB19_26:
	v_cmp_eq_u32_e32 vcc, 0, v0
	s_and_saveexec_b64 s[0:1], vcc
	s_cbranch_execz .LBB19_28
; %bb.27:
	v_mov_b32_e32 v1, 0
	ds_write_b32 v1, v1
.LBB19_28:
	s_or_b64 exec, exec, s[0:1]
	v_mbcnt_lo_u32_b32 v1, -1, 0
	v_and_b32_e32 v9, 7, v0
	v_mbcnt_hi_u32_b32 v12, -1, v1
	v_lshrrev_b32_e32 v8, 3, v0
	v_mul_lo_u32 v1, s42, v9
	v_cmp_gt_i32_e64 s[0:1], s24, v8
	v_lshlrev_b32_e32 v10, 2, v1
	v_lshlrev_b32_e32 v11, 2, v8
	s_and_saveexec_b64 s[22:23], s[0:1]
	s_cbranch_execz .LBB19_36
; %bb.29:
	s_cmp_gt_i32 s16, 2
	s_mul_i32 s4, s24, 40
	v_add3_u32 v4, v10, s4, v11
	s_cselect_b64 s[4:5], -1, 0
	s_lshl_b32 s6, s24, 3
	v_lshlrev_b32_e32 v3, 2, v12
	s_lshl_b32 s16, s24, 6
	v_add3_u32 v5, v10, s6, v11
	v_cndmask_b32_e64 v6, 0, 1, s[4:5]
	v_xor_b32_e32 v1, 4, v3
	v_xor_b32_e32 v2, 8, v3
	;; [unrolled: 1-line block ×3, first 2 shown]
	v_cmp_eq_u32_e64 s[2:3], 0, v9
	v_add3_u32 v4, v4, 0, 40
	s_add_i32 s16, s16, 64
	v_add3_u32 v5, v5, 0, 8
	s_mov_b64 s[38:39], 0
	v_cmp_ne_u32_e64 s[4:5], 1, v6
	v_mov_b32_e32 v6, v8
	s_branch .LBB19_31
.LBB19_30:                              ;   in Loop: Header=BB19_31 Depth=1
	s_or_b64 exec, exec, s[6:7]
	v_add_u32_e32 v6, 32, v6
	v_cmp_le_i32_e32 vcc, s24, v6
	v_add_u32_e32 v4, 0x80, v4
	s_or_b64 s[38:39], vcc, s[38:39]
	v_add_u32_e32 v5, 0x80, v5
	s_andn2_b64 exec, exec, s[38:39]
	s_cbranch_execz .LBB19_36
.LBB19_31:                              ; =>This Loop Header: Depth=1
                                        ;     Child Loop BB19_33 Depth 2
	s_and_b64 vcc, exec, s[4:5]
	v_mov_b32_e32 v7, 0
	s_cbranch_vccnz .LBB19_34
; %bb.32:                               ;   in Loop: Header=BB19_31 Depth=1
	s_mov_b32 s21, 0
	v_mov_b32_e32 v7, 0
	s_mov_b32 s42, 0
.LBB19_33:                              ;   Parent Loop BB19_31 Depth=1
                                        ; =>  This Inner Loop Header: Depth=2
	v_add_u32_e32 v13, s21, v5
	v_add_u32_e32 v14, s21, v4
	ds_read_b32 v13, v13
	ds_read_b32 v14, v14
	s_add_i32 s42, s42, 16
	s_add_i32 s21, s21, s16
	s_cmp_lt_i32 s42, s25
	s_waitcnt lgkmcnt(1)
	v_cmp_ne_u32_e32 vcc, 0, v13
	v_cndmask_b32_e64 v13, 0, 1, vcc
	s_waitcnt lgkmcnt(0)
	v_cmp_ne_u32_e64 s[6:7], 0, v14
	v_cndmask_b32_e64 v14, 0, 1, s[6:7]
	ds_bpermute_b32 v13, v1, v13
	ds_bpermute_b32 v14, v1, v14
	s_waitcnt lgkmcnt(1)
	v_addc_co_u32_e64 v15, s[8:9], 0, v13, vcc
	s_waitcnt lgkmcnt(0)
	v_addc_co_u32_e64 v16, s[8:9], 0, v14, s[6:7]
	ds_bpermute_b32 v15, v2, v15
	ds_bpermute_b32 v16, v2, v16
	s_waitcnt lgkmcnt(1)
	v_addc_co_u32_e32 v13, vcc, v15, v13, vcc
	s_waitcnt lgkmcnt(0)
	v_addc_co_u32_e64 v14, vcc, v16, v14, s[6:7]
	ds_bpermute_b32 v15, v3, v13
	ds_bpermute_b32 v16, v3, v14
	s_waitcnt lgkmcnt(1)
	v_add3_u32 v7, v13, v7, v15
	s_waitcnt lgkmcnt(0)
	v_add3_u32 v7, v7, v14, v16
	s_cbranch_scc1 .LBB19_33
.LBB19_34:                              ;   in Loop: Header=BB19_31 Depth=1
	s_and_saveexec_b64 s[6:7], s[2:3]
	s_cbranch_execz .LBB19_30
; %bb.35:                               ;   in Loop: Header=BB19_31 Depth=1
	v_lshl_add_u32 v13, v6, 2, 0
	ds_write_b32 v13, v7 offset:4
	s_branch .LBB19_30
.LBB19_36:
	s_or_b64 exec, exec, s[22:23]
	s_cmp_lg_u32 s41, 0
	s_mov_b32 s16, 0
	s_waitcnt lgkmcnt(0)
	s_barrier
	s_cbranch_scc1 .LBB19_45
; %bb.37:
	s_cmp_lt_i32 s24, 1
	v_mov_b32_e32 v2, 0
	s_cbranch_scc1 .LBB19_42
; %bb.38:
	v_lshlrev_b32_e32 v2, 2, v12
	v_and_b32_e32 v3, 0xc0, v2
	v_cmp_eq_u32_e32 vcc, 0, v12
	s_add_i32 s21, s17, -1
	v_add_u32_e32 v1, -4, v3
	v_cmp_lt_u32_e64 s[2:3], 15, v12
	v_add_u32_e32 v3, 0xffffffbc, v3
	v_cmp_lt_u32_e64 s[4:5], 31, v12
	v_add3_u32 v4, v2, 0, 4
	s_branch .LBB19_40
.LBB19_39:                              ;   in Loop: Header=BB19_40 Depth=1
	s_or_b64 exec, exec, s[8:9]
	s_add_i32 s16, s16, 64
	s_cmp_lt_i32 s16, s24
	v_add_u32_e32 v4, 0x100, v4
	s_waitcnt lgkmcnt(0)
	s_cbranch_scc0 .LBB19_42
.LBB19_40:                              ; =>This Inner Loop Header: Depth=1
	ds_read_b32 v5, v4
	v_mov_b32_e32 v2, s16
	v_cndmask_b32_e32 v2, 0, v2, vcc
	v_lshl_add_u32 v2, v2, 2, 0
	ds_read_b32 v2, v2
	s_waitcnt lgkmcnt(1)
	v_add_u32_e32 v5, s21, v5
	v_mul_hi_u32 v6, v5, s18
	v_add_u32_e32 v5, v5, v6
	v_lshrrev_b32_e32 v5, s19, v5
	s_waitcnt lgkmcnt(0)
	v_mad_u64_u32 v[6:7], s[6:7], v5, s17, v[2:3]
	s_nop 1
	v_add_u32_dpp v2, v6, v6 row_shr:1 row_mask:0xf bank_mask:0xf bound_ctrl:1
	v_add_u32_e32 v6, s16, v12
	v_cmp_gt_i32_e64 s[6:7], s24, v6
	v_add_u32_dpp v2, v2, v2 row_shr:2 row_mask:0xf bank_mask:0xf bound_ctrl:1
	s_nop 1
	v_add_u32_dpp v2, v2, v2 row_shr:4 row_mask:0xf bank_mask:0xf bound_ctrl:1
	s_nop 1
	v_add_u32_dpp v2, v2, v2 row_shr:8 row_mask:0xf bank_mask:0xf bound_ctrl:1
	ds_bpermute_b32 v5, v1, v2
	s_waitcnt lgkmcnt(0)
	v_cndmask_b32_e64 v5, 0, v5, s[2:3]
	v_add_u32_e32 v2, v2, v5
	ds_bpermute_b32 v5, v3, v2
	s_waitcnt lgkmcnt(0)
	v_cndmask_b32_e64 v5, 0, v5, s[4:5]
	v_add_u32_e32 v2, v2, v5
	s_and_saveexec_b64 s[8:9], s[6:7]
	s_cbranch_execz .LBB19_39
; %bb.41:                               ;   in Loop: Header=BB19_40 Depth=1
	ds_write_b32 v4, v2
	s_branch .LBB19_39
.LBB19_42:
	v_add_u32_e32 v1, s16, v12
	v_subrev_u32_e32 v1, 63, v1
	v_cmp_eq_u32_e32 vcc, s24, v1
	s_and_saveexec_b64 s[2:3], vcc
	s_cbranch_execz .LBB19_44
; %bb.43:
	v_mov_b32_e32 v1, 0
	v_mov_b32_e32 v3, s33
	global_store_dwordx2 v1, v[2:3], s[36:37]
.LBB19_44:
	s_or_b64 exec, exec, s[2:3]
.LBB19_45:
	s_cmp_eq_u64 s[34:35], 0
	s_barrier
	s_cbranch_scc1 .LBB19_55
; %bb.46:
	s_mul_i32 s16, s33, s20
	v_cmp_gt_i32_e32 vcc, s16, v0
	s_and_saveexec_b64 s[4:5], vcc
	s_cbranch_execz .LBB19_54
; %bb.47:
	v_xad_u32 v1, v0, -1, s16
	s_movk_i32 s2, 0xff
	v_cmp_lt_u32_e32 vcc, s2, v1
	s_mov_b64 s[2:3], -1
	v_mov_b32_e32 v2, v0
	s_and_saveexec_b64 s[6:7], vcc
	s_cbranch_execz .LBB19_51
; %bb.48:
	v_lshrrev_b32_e32 v1, 8, v1
	v_add_u32_e32 v6, 1, v1
	v_and_b32_e32 v7, 0x1fffffe, v6
	v_add_u32_e32 v1, 0x100, v0
	s_mov_b64 s[8:9], 0
	v_mov_b32_e32 v13, s29
	v_mov_b32_e32 v14, s35
	;; [unrolled: 1-line block ×4, first 2 shown]
	v_pk_mov_b32 v[4:5], v[0:1], v[0:1] op_sel:[0,1]
.LBB19_49:                              ; =>This Inner Loop Header: Depth=1
	v_mov_b32_e32 v2, v4
	v_lshlrev_b64 v[16:17], 2, v[2:3]
	v_mov_b32_e32 v2, v5
	v_add_co_u32_e32 v18, vcc, s28, v16
	v_addc_co_u32_e32 v19, vcc, v13, v17, vcc
	v_lshlrev_b64 v[20:21], 2, v[2:3]
	v_add_co_u32_e32 v22, vcc, s28, v20
	v_addc_co_u32_e32 v23, vcc, v13, v21, vcc
	global_load_dword v1, v[18:19], off
	global_load_dword v2, v[22:23], off
	v_add_u32_e32 v15, -2, v15
	v_cmp_eq_u32_e32 vcc, 0, v15
	v_add_co_u32_e64 v16, s[2:3], s34, v16
	v_add_u32_e32 v4, 0x200, v4
	v_add_u32_e32 v5, 0x200, v5
	v_addc_co_u32_e64 v17, s[2:3], v14, v17, s[2:3]
	s_or_b64 s[8:9], vcc, s[8:9]
	v_add_co_u32_e32 v18, vcc, s34, v20
	v_addc_co_u32_e32 v19, vcc, v14, v21, vcc
	s_waitcnt vmcnt(1)
	global_store_dword v[16:17], v1, off
	s_waitcnt vmcnt(1)
	global_store_dword v[18:19], v2, off
	s_andn2_b64 exec, exec, s[8:9]
	s_cbranch_execnz .LBB19_49
; %bb.50:
	s_or_b64 exec, exec, s[8:9]
	v_cmp_ne_u32_e32 vcc, v6, v7
	v_lshl_add_u32 v2, v7, 8, v0
	s_orn2_b64 s[2:3], vcc, exec
.LBB19_51:
	s_or_b64 exec, exec, s[6:7]
	s_and_b64 exec, exec, s[2:3]
	s_cbranch_execz .LBB19_54
; %bb.52:
	v_mov_b32_e32 v3, 0
	v_lshlrev_b64 v[6:7], 2, v[2:3]
	v_mov_b32_e32 v1, s29
	v_add_co_u32_e32 v4, vcc, s28, v6
	v_addc_co_u32_e32 v5, vcc, v1, v7, vcc
	v_mov_b32_e32 v1, s35
	v_add_co_u32_e32 v6, vcc, s34, v6
	v_addc_co_u32_e32 v7, vcc, v1, v7, vcc
	s_mov_b64 s[2:3], 0
.LBB19_53:                              ; =>This Inner Loop Header: Depth=1
	global_load_dword v1, v[4:5], off
	v_add_co_u32_e32 v4, vcc, 0x400, v4
	v_add_u32_e32 v2, 0x100, v2
	v_addc_co_u32_e32 v5, vcc, 0, v5, vcc
	v_cmp_le_i32_e32 vcc, s16, v2
	s_or_b64 s[2:3], vcc, s[2:3]
	s_waitcnt vmcnt(0)
	global_store_dword v[6:7], v1, off
	v_add_co_u32_e32 v6, vcc, 0x400, v6
	v_addc_co_u32_e32 v7, vcc, 0, v7, vcc
	s_andn2_b64 exec, exec, s[2:3]
	s_cbranch_execnz .LBB19_53
.LBB19_54:
	s_or_b64 exec, exec, s[4:5]
	s_barrier
.LBB19_55:
	s_lshl_b32 s16, s24, 2
	s_add_i32 s28, s16, 0
	s_add_i32 s21, s28, 4
	v_cmp_gt_i32_e64 s[2:3], s24, v0
	s_and_saveexec_b64 s[4:5], s[2:3]
	s_cbranch_execz .LBB19_61
; %bb.56:
	s_mov_b64 s[6:7], 0
	v_mov_b32_e32 v3, 0
	v_mov_b32_e32 v1, v0
	s_branch .LBB19_58
.LBB19_57:                              ;   in Loop: Header=BB19_58 Depth=1
	s_or_b64 exec, exec, s[8:9]
	v_add_u32_e32 v1, 0x100, v1
	v_cmp_le_i32_e32 vcc, s24, v1
	s_or_b64 s[6:7], vcc, s[6:7]
	s_andn2_b64 exec, exec, s[6:7]
	s_cbranch_execz .LBB19_61
.LBB19_58:                              ; =>This Loop Header: Depth=1
                                        ;     Child Loop BB19_60 Depth 2
	v_lshlrev_b32_e32 v2, 2, v1
	v_add_u32_e32 v4, 0, v2
	ds_read2_b32 v[4:5], v4 offset1:1
	v_add_u32_e32 v2, s21, v2
	s_waitcnt lgkmcnt(0)
	v_cmp_lt_i32_e32 vcc, v4, v5
	ds_write_b32 v2, v4
	s_and_saveexec_b64 s[8:9], vcc
	s_cbranch_execz .LBB19_57
; %bb.59:                               ;   in Loop: Header=BB19_58 Depth=1
	s_mov_b64 s[22:23], 0
.LBB19_60:                              ;   Parent Loop BB19_58 Depth=1
                                        ; =>  This Inner Loop Header: Depth=2
	v_mul_hi_u32 v2, s18, v4
	v_add_u32_e32 v2, v4, v2
	v_add_u32_e32 v4, s17, v4
	v_lshrrev_b32_e32 v2, s19, v2
	v_cmp_ge_i32_e32 vcc, v4, v5
	v_lshlrev_b64 v[6:7], 2, v[2:3]
	v_mov_b32_e32 v13, s15
	s_or_b64 s[22:23], vcc, s[22:23]
	v_add_co_u32_e32 v6, vcc, s14, v6
	v_addc_co_u32_e32 v7, vcc, v13, v7, vcc
	global_store_dword v[6:7], v1, off
	s_andn2_b64 exec, exec, s[22:23]
	s_cbranch_execnz .LBB19_60
	s_branch .LBB19_57
.LBB19_61:
	s_or_b64 exec, exec, s[4:5]
	v_mov_b32_e32 v1, s28
	s_waitcnt lgkmcnt(0)
	s_barrier
	ds_read_b32 v1, v1
	s_add_i32 s4, s28, s16
	v_mov_b32_e32 v2, s4
	s_andn2_b64 vcc, exec, s[26:27]
	s_waitcnt lgkmcnt(0)
	ds_write_b32 v2, v1 offset:4
	s_cbranch_vccnz .LBB19_73
; %bb.62:
	s_add_u32 s27, s10, -4
	s_addc_u32 s28, s11, -1
	s_add_u32 s29, s30, -4
	s_addc_u32 s30, s31, -1
	s_add_u32 s31, s12, -4
	s_addc_u32 s34, s13, -1
	s_lshl_b32 s6, s24, 3
	v_and_b32_e32 v1, 8, v12
	v_add3_u32 v3, v10, s6, v11
	s_lshl_b32 s36, s24, 5
	v_cmp_gt_i32_e32 vcc, s25, v9
	s_mov_b32 s26, 0
	v_cmp_eq_u32_e64 s[4:5], 0, v1
	v_lshl_or_b32 v1, v0, 2, 28
	v_mul_lo_u32 v2, s20, v9
	s_lshl_b32 s35, s20, 3
	v_add3_u32 v3, v3, 0, 8
	s_add_i32 s36, s36, 32
	s_mov_b32 s37, 0x4020100
	s_branch .LBB19_64
.LBB19_63:                              ;   in Loop: Header=BB19_64 Depth=1
	s_or_b64 exec, exec, s[14:15]
	s_add_i32 s26, s26, s25
	s_cmp_ge_i32 s26, s33
	v_add_u32_e32 v2, s40, v2
	s_waitcnt lgkmcnt(0)
	s_barrier
	s_cbranch_scc1 .LBB19_73
.LBB19_64:                              ; =>This Loop Header: Depth=1
                                        ;     Child Loop BB19_68 Depth 2
                                        ;       Child Loop BB19_71 Depth 3
	s_and_saveexec_b64 s[14:15], s[0:1]
	s_cbranch_execz .LBB19_63
; %bb.65:                               ;   in Loop: Header=BB19_64 Depth=1
	s_mov_b64 s[16:17], 0
	v_mov_b32_e32 v4, v3
	v_mov_b32_e32 v5, v8
	s_branch .LBB19_68
.LBB19_66:                              ;   in Loop: Header=BB19_68 Depth=2
	s_or_b64 exec, exec, s[22:23]
.LBB19_67:                              ;   in Loop: Header=BB19_68 Depth=2
	s_or_b64 exec, exec, s[18:19]
	v_add_u32_e32 v5, 32, v5
	v_cmp_le_i32_e64 s[6:7], s24, v5
	s_or_b64 s[16:17], s[6:7], s[16:17]
	v_add_u32_e32 v4, 0x80, v4
	s_waitcnt lgkmcnt(0)
	ds_write_b32 v6, v7
	s_andn2_b64 exec, exec, s[16:17]
	s_cbranch_execz .LBB19_63
.LBB19_68:                              ;   Parent Loop BB19_64 Depth=1
                                        ; =>  This Loop Header: Depth=2
                                        ;       Child Loop BB19_71 Depth 3
	v_lshl_add_u32 v6, v5, 2, 0
	ds_read_b32 v7, v6
	s_and_saveexec_b64 s[18:19], vcc
	s_cbranch_execz .LBB19_67
; %bb.69:                               ;   in Loop: Header=BB19_68 Depth=2
	s_mov_b64 s[22:23], 0
	v_mov_b32_e32 v10, v4
	v_mov_b32_e32 v11, v2
	;; [unrolled: 1-line block ×3, first 2 shown]
	s_branch .LBB19_71
.LBB19_70:                              ;   in Loop: Header=BB19_71 Depth=3
	s_or_b64 exec, exec, s[8:9]
	ds_bpermute_b32 v13, v1, v13
	v_add_u32_e32 v12, 8, v12
	v_cmp_le_i32_e64 s[6:7], s25, v12
	v_add_u32_e32 v11, s35, v11
	s_or_b64 s[22:23], s[6:7], s[22:23]
	s_waitcnt lgkmcnt(0)
	v_add_u32_e32 v7, v13, v7
	v_add_u32_e32 v10, s36, v10
	s_andn2_b64 exec, exec, s[22:23]
	s_cbranch_execz .LBB19_66
.LBB19_71:                              ;   Parent Loop BB19_64 Depth=1
                                        ;     Parent Loop BB19_68 Depth=2
                                        ; =>    This Inner Loop Header: Depth=3
	ds_read_b32 v14, v10
	s_waitcnt lgkmcnt(0)
	v_cmp_ne_u32_e64 s[6:7], 0, v14
	v_cndmask_b32_e64 v13, 0, 1, s[6:7]
	s_nop 1
	v_mov_b32_dpp v13, v13 row_shr:1 row_mask:0xf bank_mask:0xf bound_ctrl:1
	v_addc_co_u32_e64 v15, s[8:9], 0, v13, s[6:7]
	s_nop 1
	v_mov_b32_dpp v15, v15 row_shr:2 row_mask:0xf bank_mask:0xf bound_ctrl:1
	v_addc_co_u32_e64 v13, s[8:9], v15, v13, s[6:7]
	s_nop 1
	v_add_u32_dpp v13, v13, v13 row_shr:4 row_mask:0xf bank_mask:0xf bound_ctrl:1
	s_nop 1
	v_add_u32_dpp v13, v13, v13 row_shr:8 row_mask:0xf bank_mask:0xf bound_ctrl:1
	s_nop 1
	v_mov_b32_dpp v15, v13 row_newbcast:7 row_mask:0xf bank_mask:0xf bound_ctrl:1
	v_cndmask_b32_e64 v15, v15, 0, s[4:5]
	v_sub_u32_e32 v13, v13, v15
	s_and_saveexec_b64 s[8:9], s[6:7]
	s_cbranch_execz .LBB19_70
; %bb.72:                               ;   in Loop: Header=BB19_71 Depth=3
	v_add_u32_e32 v16, v11, v14
	v_ashrrev_i32_e32 v17, 31, v16
	v_lshlrev_b64 v[16:17], 2, v[16:17]
	v_mov_b32_e32 v15, s30
	v_add_co_u32_e64 v16, s[6:7], s29, v16
	v_addc_co_u32_e64 v17, s[6:7], v15, v17, s[6:7]
	global_load_dword v18, v[16:17], off
	v_add_u32_e32 v15, s26, v12
	v_perm_b32 v14, v14, v15, s37
	v_add_u32_e32 v19, 0xff000000, v14
	v_add_u32_e32 v14, v13, v7
	v_ashrrev_i32_e32 v15, 31, v14
	v_lshlrev_b64 v[14:15], 2, v[14:15]
	v_mov_b32_e32 v17, s28
	v_add_co_u32_e64 v16, s[6:7], s27, v14
	v_addc_co_u32_e64 v17, s[6:7], v17, v15, s[6:7]
	global_store_dword v[16:17], v19, off
	v_mov_b32_e32 v16, s34
	v_add_co_u32_e64 v14, s[6:7], s31, v14
	v_addc_co_u32_e64 v15, s[6:7], v16, v15, s[6:7]
	s_waitcnt vmcnt(1)
	global_store_dword v[14:15], v18, off
	s_branch .LBB19_70
.LBB19_73:
	s_and_saveexec_b64 s[0:1], s[2:3]
	s_cbranch_execz .LBB19_84
; %bb.74:
	s_and_b32 s0, s33, 0xffffff
	s_lshl_b32 s1, s20, 24
	s_or_b32 s4, s0, s1
	s_mov_b32 s5, s4
	s_add_i32 s21, s21, 4
	s_mov_b64 s[2:3], 0
	s_mov_b32 s16, 0
	v_mov_b32_e32 v1, 0
	s_branch .LBB19_76
.LBB19_75:                              ;   in Loop: Header=BB19_76 Depth=1
	s_or_b64 exec, exec, s[8:9]
	v_add_u32_e32 v0, 0x100, v0
	v_cmp_le_i32_e32 vcc, s24, v0
	s_or_b64 s[2:3], vcc, s[2:3]
	s_andn2_b64 exec, exec, s[2:3]
	s_cbranch_execz .LBB19_84
.LBB19_76:                              ; =>This Loop Header: Depth=1
                                        ;     Child Loop BB19_79 Depth 2
                                        ;     Child Loop BB19_83 Depth 2
	v_lshlrev_b32_e32 v2, 2, v0
	v_add_u32_e32 v3, 0, v2
	v_add_u32_e32 v4, s21, v2
	ds_read_b32 v2, v3
	ds_read_b32 v8, v4
	s_waitcnt lgkmcnt(0)
	v_cmp_gt_i32_e32 vcc, v8, v2
	s_and_saveexec_b64 s[8:9], vcc
	s_cbranch_execz .LBB19_75
; %bb.77:                               ;   in Loop: Header=BB19_76 Depth=1
	v_sub_u32_e32 v3, v8, v2
	v_cmp_lt_u32_e32 vcc, 15, v3
	s_mov_b64 s[6:7], -1
	s_and_saveexec_b64 s[0:1], vcc
	s_cbranch_execz .LBB19_81
; %bb.78:                               ;   in Loop: Header=BB19_76 Depth=1
	v_and_b32_e32 v6, -16, v3
	s_mov_b64 s[14:15], 0
	v_mov_b32_e32 v4, v2
	v_mov_b32_e32 v7, v6
.LBB19_79:                              ;   Parent Loop BB19_76 Depth=1
                                        ; =>  This Inner Loop Header: Depth=2
	v_ashrrev_i32_e32 v5, 31, v4
	v_lshlrev_b64 v[14:15], 2, v[4:5]
	v_mov_b32_e32 v5, s11
	v_add_co_u32_e32 v16, vcc, s10, v14
	v_addc_co_u32_e32 v17, vcc, v5, v15, vcc
	s_mov_b32 s6, s4
	s_mov_b32 s7, s5
	v_pk_mov_b32 v[12:13], s[6:7], s[6:7] op_sel:[0,1]
	v_mov_b32_e32 v5, s13
	v_add_co_u32_e32 v14, vcc, s12, v14
	v_pk_mov_b32 v[10:11], s[4:5], s[4:5] op_sel:[0,1]
	v_addc_co_u32_e32 v15, vcc, v5, v15, vcc
	s_mov_b32 s17, s16
	v_add_u32_e32 v7, -16, v7
	global_store_dwordx4 v[16:17], v[10:13], off
	global_store_dwordx4 v[16:17], v[10:13], off offset:16
	global_store_dwordx4 v[16:17], v[10:13], off offset:32
	;; [unrolled: 1-line block ×3, first 2 shown]
	s_mov_b32 s18, s16
	s_mov_b32 s19, s16
	v_pk_mov_b32 v[10:11], s[16:17], s[16:17] op_sel:[0,1]
	v_cmp_eq_u32_e32 vcc, 0, v7
	v_pk_mov_b32 v[12:13], s[18:19], s[18:19] op_sel:[0,1]
	s_or_b64 s[14:15], vcc, s[14:15]
	v_add_u32_e32 v4, 16, v4
	global_store_dwordx4 v[14:15], v[10:13], off
	global_store_dwordx4 v[14:15], v[10:13], off offset:16
	global_store_dwordx4 v[14:15], v[10:13], off offset:32
	;; [unrolled: 1-line block ×3, first 2 shown]
	s_andn2_b64 exec, exec, s[14:15]
	s_cbranch_execnz .LBB19_79
; %bb.80:                               ;   in Loop: Header=BB19_76 Depth=1
	s_or_b64 exec, exec, s[14:15]
	v_cmp_ne_u32_e32 vcc, v3, v6
	v_add_u32_e32 v2, v2, v6
	s_orn2_b64 s[6:7], vcc, exec
.LBB19_81:                              ;   in Loop: Header=BB19_76 Depth=1
	s_or_b64 exec, exec, s[0:1]
	s_and_b64 exec, exec, s[6:7]
	s_cbranch_execz .LBB19_75
; %bb.82:                               ;   in Loop: Header=BB19_76 Depth=1
	v_ashrrev_i32_e32 v3, 31, v2
	v_lshlrev_b64 v[6:7], 2, v[2:3]
	v_mov_b32_e32 v3, s11
	v_add_co_u32_e32 v4, vcc, s10, v6
	v_addc_co_u32_e32 v5, vcc, v3, v7, vcc
	v_mov_b32_e32 v3, s13
	v_add_co_u32_e32 v6, vcc, s12, v6
	v_addc_co_u32_e32 v7, vcc, v3, v7, vcc
	s_mov_b64 s[6:7], 0
.LBB19_83:                              ;   Parent Loop BB19_76 Depth=1
                                        ; =>  This Inner Loop Header: Depth=2
	global_store_dword v[6:7], v1, off
	v_add_co_u32_e32 v6, vcc, 4, v6
	v_mov_b32_e32 v3, s4
	v_add_u32_e32 v2, 1, v2
	v_addc_co_u32_e32 v7, vcc, 0, v7, vcc
	global_store_dword v[4:5], v3, off
	v_cmp_ge_i32_e32 vcc, v2, v8
	v_add_co_u32_e64 v4, s[0:1], 4, v4
	s_or_b64 s[6:7], vcc, s[6:7]
	v_addc_co_u32_e64 v5, vcc, 0, v5, s[0:1]
	s_andn2_b64 exec, exec, s[6:7]
	s_cbranch_execnz .LBB19_83
	s_branch .LBB19_75
.LBB19_84:
	s_endpgm
	.section	.rodata,"a",@progbits
	.p2align	6, 0x0
	.amdhsa_kernel _ZN5aiter22opus_moe_sorting_entryINS_16MoeSortingKernelINS_19MoeSortingProblemExIifLi2ELb1ELb0ELb1ELb1ELi0EEEEENS4_5KargsEEEvT0_
		.amdhsa_group_segment_fixed_size 0
		.amdhsa_private_segment_fixed_size 0
		.amdhsa_kernarg_size 400
		.amdhsa_user_sgpr_count 6
		.amdhsa_user_sgpr_private_segment_buffer 1
		.amdhsa_user_sgpr_dispatch_ptr 0
		.amdhsa_user_sgpr_queue_ptr 0
		.amdhsa_user_sgpr_kernarg_segment_ptr 1
		.amdhsa_user_sgpr_dispatch_id 0
		.amdhsa_user_sgpr_flat_scratch_init 0
		.amdhsa_user_sgpr_kernarg_preload_length 0
		.amdhsa_user_sgpr_kernarg_preload_offset 0
		.amdhsa_user_sgpr_private_segment_size 0
		.amdhsa_uses_dynamic_stack 0
		.amdhsa_system_sgpr_private_segment_wavefront_offset 0
		.amdhsa_system_sgpr_workgroup_id_x 1
		.amdhsa_system_sgpr_workgroup_id_y 0
		.amdhsa_system_sgpr_workgroup_id_z 0
		.amdhsa_system_sgpr_workgroup_info 0
		.amdhsa_system_vgpr_workitem_id 0
		.amdhsa_next_free_vgpr 24
		.amdhsa_next_free_sgpr 44
		.amdhsa_accum_offset 24
		.amdhsa_reserve_vcc 1
		.amdhsa_reserve_flat_scratch 0
		.amdhsa_float_round_mode_32 0
		.amdhsa_float_round_mode_16_64 0
		.amdhsa_float_denorm_mode_32 3
		.amdhsa_float_denorm_mode_16_64 3
		.amdhsa_dx10_clamp 1
		.amdhsa_ieee_mode 1
		.amdhsa_fp16_overflow 0
		.amdhsa_tg_split 0
		.amdhsa_exception_fp_ieee_invalid_op 0
		.amdhsa_exception_fp_denorm_src 0
		.amdhsa_exception_fp_ieee_div_zero 0
		.amdhsa_exception_fp_ieee_overflow 0
		.amdhsa_exception_fp_ieee_underflow 0
		.amdhsa_exception_fp_ieee_inexact 0
		.amdhsa_exception_int_div_zero 0
	.end_amdhsa_kernel
	.section	.text._ZN5aiter22opus_moe_sorting_entryINS_16MoeSortingKernelINS_19MoeSortingProblemExIifLi2ELb1ELb0ELb1ELb1ELi0EEEEENS4_5KargsEEEvT0_,"axG",@progbits,_ZN5aiter22opus_moe_sorting_entryINS_16MoeSortingKernelINS_19MoeSortingProblemExIifLi2ELb1ELb0ELb1ELb1ELi0EEEEENS4_5KargsEEEvT0_,comdat
.Lfunc_end19:
	.size	_ZN5aiter22opus_moe_sorting_entryINS_16MoeSortingKernelINS_19MoeSortingProblemExIifLi2ELb1ELb0ELb1ELb1ELi0EEEEENS4_5KargsEEEvT0_, .Lfunc_end19-_ZN5aiter22opus_moe_sorting_entryINS_16MoeSortingKernelINS_19MoeSortingProblemExIifLi2ELb1ELb0ELb1ELb1ELi0EEEEENS4_5KargsEEEvT0_
                                        ; -- End function
	.section	.AMDGPU.csdata,"",@progbits
; Kernel info:
; codeLenInByte = 3632
; NumSgprs: 48
; NumVgprs: 24
; NumAgprs: 0
; TotalNumVgprs: 24
; ScratchSize: 0
; MemoryBound: 0
; FloatMode: 240
; IeeeMode: 1
; LDSByteSize: 0 bytes/workgroup (compile time only)
; SGPRBlocks: 5
; VGPRBlocks: 2
; NumSGPRsForWavesPerEU: 48
; NumVGPRsForWavesPerEU: 24
; AccumOffset: 24
; Occupancy: 8
; WaveLimiterHint : 1
; COMPUTE_PGM_RSRC2:SCRATCH_EN: 0
; COMPUTE_PGM_RSRC2:USER_SGPR: 6
; COMPUTE_PGM_RSRC2:TRAP_HANDLER: 0
; COMPUTE_PGM_RSRC2:TGID_X_EN: 1
; COMPUTE_PGM_RSRC2:TGID_Y_EN: 0
; COMPUTE_PGM_RSRC2:TGID_Z_EN: 0
; COMPUTE_PGM_RSRC2:TIDIG_COMP_CNT: 0
; COMPUTE_PGM_RSRC3_GFX90A:ACCUM_OFFSET: 5
; COMPUTE_PGM_RSRC3_GFX90A:TG_SPLIT: 0
	.section	.text._ZN5aiter22opus_moe_sorting_entryINS_16MoeSortingKernelINS_19MoeSortingProblemExIifLi1ELb1ELb0ELb1ELb1ELi0EEEEENS4_5KargsEEEvT0_,"axG",@progbits,_ZN5aiter22opus_moe_sorting_entryINS_16MoeSortingKernelINS_19MoeSortingProblemExIifLi1ELb1ELb0ELb1ELb1ELi0EEEEENS4_5KargsEEEvT0_,comdat
	.protected	_ZN5aiter22opus_moe_sorting_entryINS_16MoeSortingKernelINS_19MoeSortingProblemExIifLi1ELb1ELb0ELb1ELb1ELi0EEEEENS4_5KargsEEEvT0_ ; -- Begin function _ZN5aiter22opus_moe_sorting_entryINS_16MoeSortingKernelINS_19MoeSortingProblemExIifLi1ELb1ELb0ELb1ELb1ELi0EEEEENS4_5KargsEEEvT0_
	.globl	_ZN5aiter22opus_moe_sorting_entryINS_16MoeSortingKernelINS_19MoeSortingProblemExIifLi1ELb1ELb0ELb1ELb1ELi0EEEEENS4_5KargsEEEvT0_
	.p2align	8
	.type	_ZN5aiter22opus_moe_sorting_entryINS_16MoeSortingKernelINS_19MoeSortingProblemExIifLi1ELb1ELb0ELb1ELb1ELi0EEEEENS4_5KargsEEEvT0_,@function
_ZN5aiter22opus_moe_sorting_entryINS_16MoeSortingKernelINS_19MoeSortingProblemExIifLi1ELb1ELb0ELb1ELb1ELi0EEEEENS4_5KargsEEEvT0_: ; @_ZN5aiter22opus_moe_sorting_entryINS_16MoeSortingKernelINS_19MoeSortingProblemExIifLi1ELb1ELb0ELb1ELb1ELi0EEEEENS4_5KargsEEEvT0_
; %bb.0:
	s_load_dwordx8 s[8:15], s[4:5], 0x18
	s_load_dwordx4 s[36:39], s[4:5], 0x38
	s_load_dwordx2 s[34:35], s[4:5], 0x48
	s_load_dwordx4 s[24:27], s[4:5], 0x54
	s_cmp_eq_u32 s6, 0
	s_waitcnt lgkmcnt(0)
	s_load_dword s33, s[8:9], 0x0
	s_cbranch_scc1 .LBB20_7
; %bb.1:
	s_cmp_eq_u64 s[38:39], 0
	s_mov_b64 s[2:3], 0
	s_cbranch_scc1 .LBB20_6
; %bb.2:
	s_waitcnt lgkmcnt(0)
	s_ashr_i32 s0, s33, 31
	s_mul_i32 s7, s26, s25
	s_mul_hi_i32 s1, s26, s25
	s_mul_i32 s0, s7, s0
	s_mul_hi_u32 s8, s7, s33
	s_add_i32 s0, s8, s0
	s_mul_i32 s1, s1, s33
	s_add_i32 s1, s0, s1
	s_mul_i32 s0, s7, s33
	s_ashr_i32 s7, s1, 31
	s_lshr_b32 s8, s7, 28
	s_add_u32 s0, s0, s8
	s_addc_u32 s1, s1, 0
	v_lshl_add_u32 v1, s6, 8, v0
	s_ashr_i64 s[8:9], s[0:1], 4
	v_add_u32_e32 v2, 0xffffff00, v1
	v_mov_b32_e32 v3, 0
	s_mov_b32 s7, 0
	v_cmp_gt_i64_e32 vcc, s[8:9], v[2:3]
	s_and_saveexec_b64 s[16:17], vcc
	s_cbranch_execz .LBB20_5
; %bb.3:
	s_load_dword s0, s[4:5], 0x90
	v_lshlrev_b64 v[4:5], 4, v[2:3]
	v_mov_b32_e32 v1, s39
	v_add_co_u32_e32 v8, vcc, s38, v4
	s_waitcnt lgkmcnt(0)
	s_lshl_b32 s0, s0, 8
	s_add_i32 s6, s0, 0xffffff00
	s_lshl_b64 s[18:19], s[6:7], 4
	v_pk_mov_b32 v[6:7], v[2:3], v[2:3] op_sel:[0,1]
	v_addc_co_u32_e32 v9, vcc, v1, v5, vcc
	s_mov_b64 s[20:21], 0
	v_mov_b32_e32 v2, v3
	v_mov_b32_e32 v4, v3
	;; [unrolled: 1-line block ×5, first 2 shown]
.LBB20_4:                               ; =>This Inner Loop Header: Depth=1
	v_add_co_u32_e32 v6, vcc, s6, v6
	v_addc_co_u32_e32 v7, vcc, v7, v1, vcc
	global_store_dwordx4 v[8:9], v[2:5], off
	v_add_co_u32_e32 v8, vcc, s18, v8
	v_cmp_le_i64_e64 s[0:1], s[8:9], v[6:7]
	s_or_b64 s[20:21], s[0:1], s[20:21]
	v_addc_co_u32_e32 v9, vcc, v9, v10, vcc
	s_andn2_b64 exec, exec, s[20:21]
	s_cbranch_execnz .LBB20_4
.LBB20_5:
	s_or_b64 exec, exec, s[16:17]
.LBB20_6:
	s_andn2_b64 vcc, exec, s[2:3]
	s_cbranch_vccz .LBB20_8
	s_branch .LBB20_84
.LBB20_7:
.LBB20_8:
	s_load_dwordx8 s[16:23], s[4:5], 0x64
	s_load_dwordx4 s[28:31], s[4:5], 0x0
	s_load_dwordx2 s[0:1], s[4:5], 0x84
	v_lshrrev_b32_e32 v1, 6, v0
	v_readfirstlane_b32 s41, v1
	s_waitcnt lgkmcnt(0)
	s_add_i32 s25, s16, -2
	s_mul_i32 s26, s25, s24
	s_add_i32 s42, s24, 1
	v_cmp_gt_i32_e32 vcc, s26, v0
	s_and_saveexec_b64 s[2:3], vcc
	s_cbranch_execz .LBB20_18
; %bb.9:
	v_xad_u32 v2, v0, -1, s26
	s_movk_i32 s6, 0xff
	s_mov_b32 s5, 0
	s_mov_b32 s4, s0
	s_sub_i32 s0, s42, s23
	v_cmp_lt_u32_e32 vcc, s6, v2
	s_mov_b64 s[8:9], 0
                                        ; implicit-def: $vgpr1
                                        ; implicit-def: $sgpr23
	s_and_saveexec_b64 s[6:7], vcc
	s_xor_b64 s[6:7], exec, s[6:7]
	s_cbranch_execnz .LBB20_12
; %bb.10:
	s_or_saveexec_b64 s[6:7], s[6:7]
	v_mov_b32_e32 v2, s23
	s_xor_b64 exec, exec, s[6:7]
	s_cbranch_execnz .LBB20_15
.LBB20_11:
	s_or_b64 exec, exec, s[6:7]
	s_and_b64 exec, exec, s[8:9]
	s_cbranch_execnz .LBB20_16
	s_branch .LBB20_18
.LBB20_12:
	v_lshrrev_b32_e32 v1, 8, v2
	v_add_u32_e32 v4, 1, v1
	s_lshl_b32 s23, s24, 3
	v_and_b32_e32 v5, 0x1fffffe, v4
	v_add_u32_e32 v1, 0x100, v0
	s_add_i32 s8, s23, 0
	s_mov_b32 s27, s4
	s_mov_b32 s38, s1
	;; [unrolled: 1-line block ×3, first 2 shown]
	v_lshl_add_u32 v6, v0, 2, s8
	s_mov_b64 s[8:9], 0
	v_mov_b32_e32 v7, 0
	v_mov_b32_e32 v8, v5
	v_pk_mov_b32 v[2:3], v[0:1], v[0:1] op_sel:[0,1]
.LBB20_13:                              ; =>This Inner Loop Header: Depth=1
	v_mul_hi_u32 v1, s4, v2
	v_mul_hi_u32 v9, s27, v3
	v_add_u32_e32 v9, v3, v9
	v_add_u32_e32 v1, v2, v1
	v_add_u32_e32 v8, -2, v8
	v_lshrrev_b32_e32 v1, s38, v1
	v_lshrrev_b32_e32 v9, s1, v9
	v_cmp_eq_u32_e32 vcc, 0, v8
	v_mul_lo_u32 v9, v9, s39
	v_mul_lo_u32 v1, v1, s0
	v_add_u32_e32 v3, 0x200, v3
	v_add_u32_e32 v2, 0x200, v2
	s_or_b64 s[8:9], vcc, s[8:9]
	v_lshl_add_u32 v1, v1, 2, v6
	v_lshl_add_u32 v9, v9, 2, v6
	v_add_u32_e32 v6, 0x800, v6
	ds_write_b32 v1, v7 offset:8
	ds_write_b32 v9, v7 offset:1032
	s_andn2_b64 exec, exec, s[8:9]
	s_cbranch_execnz .LBB20_13
; %bb.14:
	s_or_b64 exec, exec, s[8:9]
	v_cmp_ne_u32_e32 vcc, v4, v5
	v_lshl_add_u32 v1, v5, 8, v0
	s_and_b64 s[8:9], vcc, exec
	s_or_saveexec_b64 s[6:7], s[6:7]
	v_mov_b32_e32 v2, s23
	s_xor_b64 exec, exec, s[6:7]
	s_cbranch_execz .LBB20_11
.LBB20_15:
	s_lshl_b32 s23, s24, 3
	v_mov_b32_e32 v2, s23
	s_or_b64 s[8:9], s[8:9], exec
	v_mov_b32_e32 v1, v0
	s_or_b64 exec, exec, s[6:7]
	s_and_b64 exec, exec, s[8:9]
	s_cbranch_execz .LBB20_18
.LBB20_16:
	v_lshl_add_u32 v2, v1, 2, v2
	v_mad_u64_u32 v[4:5], s[6:7], v1, s4, 0
	s_lshl_b64 s[4:5], s[4:5], 8
	s_lshl_b32 s0, s0, 2
	v_add3_u32 v2, v2, 0, 8
	s_mov_b64 s[6:7], 0
	v_mov_b32_e32 v3, 0
	v_mov_b32_e32 v6, s5
.LBB20_17:                              ; =>This Inner Loop Header: Depth=1
	v_add_co_u32_e32 v4, vcc, s4, v4
	v_add_u32_e32 v7, v1, v5
	v_add_u32_e32 v1, 0x100, v1
	v_addc_co_u32_e32 v5, vcc, v5, v6, vcc
	v_lshrrev_b32_e32 v7, s1, v7
	v_cmp_le_i32_e32 vcc, s26, v1
	v_mad_u64_u32 v[8:9], s[8:9], s0, v7, v[2:3]
	v_add_u32_e32 v2, 0x400, v2
	s_or_b64 s[6:7], vcc, s[6:7]
	ds_write_b32 v8, v3
	s_andn2_b64 exec, exec, s[6:7]
	s_cbranch_execnz .LBB20_17
.LBB20_18:
	s_or_b64 exec, exec, s[2:3]
	s_cmp_gt_i32 s33, 0
	s_mov_b32 s3, 0
	s_cselect_b64 s[8:9], -1, 0
	s_cmp_lt_i32 s33, 1
	s_mul_i32 s40, s20, s25
	s_waitcnt lgkmcnt(0)
	s_barrier
	s_cbranch_scc1 .LBB20_26
; %bb.19:
	s_lshl_b32 s0, s42, 3
	s_mov_b32 s2, s21
	s_add_i32 s23, s0, 0
	v_cmp_gt_i32_e32 vcc, s40, v0
	s_sub_i32 s43, 0, s20
	v_mad_u64_u32 v[2:3], s[0:1], v0, s21, 0
	s_lshl_b64 s[4:5], s[2:3], 8
	v_mov_b32_e32 v5, 0
	s_mov_b32 s2, 0
	s_branch .LBB20_21
.LBB20_20:                              ;   in Loop: Header=BB20_21 Depth=1
	s_or_b64 exec, exec, s[6:7]
	s_add_i32 s2, s2, s25
	s_add_i32 s3, s3, s40
	s_cmp_ge_i32 s2, s33
	s_barrier
	s_cbranch_scc1 .LBB20_26
.LBB20_21:                              ; =>This Loop Header: Depth=1
                                        ;     Child Loop BB20_24 Depth 2
	s_and_saveexec_b64 s[6:7], vcc
	s_cbranch_execz .LBB20_20
; %bb.22:                               ;   in Loop: Header=BB20_21 Depth=1
	s_mov_b64 s[26:27], 0
	v_pk_mov_b32 v[6:7], v[2:3], v[2:3] op_sel:[0,1]
	v_mov_b32_e32 v1, v0
	s_branch .LBB20_24
.LBB20_23:                              ;   in Loop: Header=BB20_24 Depth=2
	s_or_b64 exec, exec, s[38:39]
	v_add_u32_e32 v1, 0x100, v1
	v_cmp_le_i32_e64 s[0:1], s40, v1
	v_mov_b32_e32 v4, s5
	s_or_b64 s[26:27], s[0:1], s[26:27]
	v_add_co_u32_e64 v6, s[0:1], s4, v6
	v_addc_co_u32_e64 v7, s[0:1], v7, v4, s[0:1]
	s_waitcnt lgkmcnt(0)
	s_andn2_b64 exec, exec, s[26:27]
	s_cbranch_execz .LBB20_20
.LBB20_24:                              ;   Parent Loop BB20_21 Depth=1
                                        ; =>  This Inner Loop Header: Depth=2
	v_add_u32_e32 v4, v1, v7
	v_lshrrev_b32_e32 v8, s22, v4
	v_add_u32_e32 v4, s2, v8
	v_cmp_gt_i32_e64 s[0:1], s33, v4
	s_and_saveexec_b64 s[38:39], s[0:1]
	s_cbranch_execz .LBB20_23
; %bb.25:                               ;   in Loop: Header=BB20_24 Depth=2
	v_add_u32_e32 v4, s3, v1
	v_lshlrev_b64 v[10:11], 2, v[4:5]
	v_mov_b32_e32 v4, s29
	v_add_co_u32_e64 v10, s[0:1], s28, v10
	v_addc_co_u32_e64 v11, s[0:1], v4, v11, s[0:1]
	global_load_dword v4, v[10:11], off
	v_mul_lo_u32 v9, s43, v8
	v_mul_lo_u32 v8, v8, s42
	v_lshlrev_b32_e32 v8, 2, v8
	v_add3_u32 v9, v1, v9, 1
	s_waitcnt vmcnt(0)
	v_lshlrev_b32_e32 v4, 2, v4
	v_add3_u32 v4, s23, v4, v8
	ds_write_b32 v4, v9
	s_branch .LBB20_23
.LBB20_26:
	v_cmp_eq_u32_e32 vcc, 0, v0
	s_and_saveexec_b64 s[0:1], vcc
	s_cbranch_execz .LBB20_28
; %bb.27:
	v_mov_b32_e32 v1, 0
	ds_write_b32 v1, v1
.LBB20_28:
	s_or_b64 exec, exec, s[0:1]
	v_mbcnt_lo_u32_b32 v1, -1, 0
	v_and_b32_e32 v9, 7, v0
	v_mbcnt_hi_u32_b32 v12, -1, v1
	v_lshrrev_b32_e32 v8, 3, v0
	v_mul_lo_u32 v1, s42, v9
	v_cmp_gt_i32_e64 s[0:1], s24, v8
	v_lshlrev_b32_e32 v10, 2, v1
	v_lshlrev_b32_e32 v11, 2, v8
	s_and_saveexec_b64 s[22:23], s[0:1]
	s_cbranch_execz .LBB20_36
; %bb.29:
	s_cmp_gt_i32 s16, 2
	s_cselect_b64 s[4:5], -1, 0
	s_lshl_b32 s6, s24, 3
	v_lshlrev_b32_e32 v3, 2, v12
	v_add3_u32 v4, v10, s6, v11
	s_lshl_b32 s16, s24, 5
	v_cndmask_b32_e64 v5, 0, 1, s[4:5]
	v_xor_b32_e32 v1, 4, v3
	v_xor_b32_e32 v2, 8, v3
	;; [unrolled: 1-line block ×3, first 2 shown]
	v_cmp_eq_u32_e64 s[2:3], 0, v9
	v_add3_u32 v4, v4, 0, 8
	s_add_i32 s16, s16, 32
	s_mov_b64 s[26:27], 0
	v_cmp_ne_u32_e64 s[4:5], 1, v5
	v_mov_b32_e32 v5, v8
	s_branch .LBB20_31
.LBB20_30:                              ;   in Loop: Header=BB20_31 Depth=1
	s_or_b64 exec, exec, s[6:7]
	v_add_u32_e32 v5, 32, v5
	v_cmp_le_i32_e32 vcc, s24, v5
	s_or_b64 s[26:27], vcc, s[26:27]
	v_add_u32_e32 v4, 0x80, v4
	s_andn2_b64 exec, exec, s[26:27]
	s_cbranch_execz .LBB20_36
.LBB20_31:                              ; =>This Loop Header: Depth=1
                                        ;     Child Loop BB20_33 Depth 2
	s_and_b64 vcc, exec, s[4:5]
	v_mov_b32_e32 v6, 0
	s_cbranch_vccnz .LBB20_34
; %bb.32:                               ;   in Loop: Header=BB20_31 Depth=1
	s_mov_b32 s21, 0
	v_mov_b32_e32 v6, 0
	v_mov_b32_e32 v7, v4
.LBB20_33:                              ;   Parent Loop BB20_31 Depth=1
                                        ; =>  This Inner Loop Header: Depth=2
	ds_read_b32 v13, v7
	s_add_i32 s21, s21, 8
	v_add_u32_e32 v7, s16, v7
	s_cmp_ge_i32 s21, s25
	s_waitcnt lgkmcnt(0)
	v_cmp_ne_u32_e32 vcc, 0, v13
	v_cndmask_b32_e64 v13, 0, 1, vcc
	ds_bpermute_b32 v13, v1, v13
	s_waitcnt lgkmcnt(0)
	v_addc_co_u32_e64 v14, s[6:7], 0, v13, vcc
	ds_bpermute_b32 v14, v2, v14
	s_waitcnt lgkmcnt(0)
	v_addc_co_u32_e32 v13, vcc, v14, v13, vcc
	ds_bpermute_b32 v14, v3, v13
	s_waitcnt lgkmcnt(0)
	v_add3_u32 v6, v14, v6, v13
	s_cbranch_scc0 .LBB20_33
.LBB20_34:                              ;   in Loop: Header=BB20_31 Depth=1
	s_and_saveexec_b64 s[6:7], s[2:3]
	s_cbranch_execz .LBB20_30
; %bb.35:                               ;   in Loop: Header=BB20_31 Depth=1
	v_lshl_add_u32 v7, v5, 2, 0
	ds_write_b32 v7, v6 offset:4
	s_branch .LBB20_30
.LBB20_36:
	s_or_b64 exec, exec, s[22:23]
	s_cmp_lg_u32 s41, 0
	s_mov_b32 s16, 0
	s_waitcnt lgkmcnt(0)
	s_barrier
	s_cbranch_scc1 .LBB20_45
; %bb.37:
	s_cmp_lt_i32 s24, 1
	v_mov_b32_e32 v2, 0
	s_cbranch_scc1 .LBB20_42
; %bb.38:
	v_lshlrev_b32_e32 v2, 2, v12
	v_and_b32_e32 v3, 0xc0, v2
	v_cmp_eq_u32_e32 vcc, 0, v12
	s_add_i32 s21, s17, -1
	v_add_u32_e32 v1, -4, v3
	v_cmp_lt_u32_e64 s[2:3], 15, v12
	v_add_u32_e32 v3, 0xffffffbc, v3
	v_cmp_lt_u32_e64 s[4:5], 31, v12
	v_add3_u32 v4, v2, 0, 4
	s_branch .LBB20_40
.LBB20_39:                              ;   in Loop: Header=BB20_40 Depth=1
	s_or_b64 exec, exec, s[22:23]
	s_add_i32 s16, s16, 64
	s_cmp_lt_i32 s16, s24
	v_add_u32_e32 v4, 0x100, v4
	s_waitcnt lgkmcnt(0)
	s_cbranch_scc0 .LBB20_42
.LBB20_40:                              ; =>This Inner Loop Header: Depth=1
	ds_read_b32 v5, v4
	v_mov_b32_e32 v2, s16
	v_cndmask_b32_e32 v2, 0, v2, vcc
	v_lshl_add_u32 v2, v2, 2, 0
	ds_read_b32 v2, v2
	s_waitcnt lgkmcnt(1)
	v_add_u32_e32 v5, s21, v5
	v_mul_hi_u32 v6, v5, s18
	v_add_u32_e32 v5, v5, v6
	v_lshrrev_b32_e32 v5, s19, v5
	s_waitcnt lgkmcnt(0)
	v_mad_u64_u32 v[6:7], s[6:7], v5, s17, v[2:3]
	s_nop 1
	v_add_u32_dpp v2, v6, v6 row_shr:1 row_mask:0xf bank_mask:0xf bound_ctrl:1
	v_add_u32_e32 v6, s16, v12
	v_cmp_gt_i32_e64 s[6:7], s24, v6
	v_add_u32_dpp v2, v2, v2 row_shr:2 row_mask:0xf bank_mask:0xf bound_ctrl:1
	s_nop 1
	v_add_u32_dpp v2, v2, v2 row_shr:4 row_mask:0xf bank_mask:0xf bound_ctrl:1
	s_nop 1
	v_add_u32_dpp v2, v2, v2 row_shr:8 row_mask:0xf bank_mask:0xf bound_ctrl:1
	ds_bpermute_b32 v5, v1, v2
	s_waitcnt lgkmcnt(0)
	v_cndmask_b32_e64 v5, 0, v5, s[2:3]
	v_add_u32_e32 v2, v2, v5
	ds_bpermute_b32 v5, v3, v2
	s_waitcnt lgkmcnt(0)
	v_cndmask_b32_e64 v5, 0, v5, s[4:5]
	v_add_u32_e32 v2, v2, v5
	s_and_saveexec_b64 s[22:23], s[6:7]
	s_cbranch_execz .LBB20_39
; %bb.41:                               ;   in Loop: Header=BB20_40 Depth=1
	ds_write_b32 v4, v2
	s_branch .LBB20_39
.LBB20_42:
	v_add_u32_e32 v1, s16, v12
	v_subrev_u32_e32 v1, 63, v1
	v_cmp_eq_u32_e32 vcc, s24, v1
	s_and_saveexec_b64 s[2:3], vcc
	s_cbranch_execz .LBB20_44
; %bb.43:
	v_mov_b32_e32 v1, 0
	v_mov_b32_e32 v3, s33
	global_store_dwordx2 v1, v[2:3], s[36:37]
.LBB20_44:
	s_or_b64 exec, exec, s[2:3]
.LBB20_45:
	s_cmp_eq_u64 s[34:35], 0
	s_barrier
	s_cbranch_scc1 .LBB20_55
; %bb.46:
	s_mul_i32 s16, s33, s20
	v_cmp_gt_i32_e32 vcc, s16, v0
	s_and_saveexec_b64 s[4:5], vcc
	s_cbranch_execz .LBB20_54
; %bb.47:
	v_xad_u32 v1, v0, -1, s16
	s_movk_i32 s2, 0xff
	v_cmp_lt_u32_e32 vcc, s2, v1
	s_mov_b64 s[2:3], -1
	v_mov_b32_e32 v2, v0
	s_and_saveexec_b64 s[6:7], vcc
	s_cbranch_execz .LBB20_51
; %bb.48:
	v_lshrrev_b32_e32 v1, 8, v1
	v_add_u32_e32 v6, 1, v1
	v_and_b32_e32 v7, 0x1fffffe, v6
	v_add_u32_e32 v1, 0x100, v0
	s_mov_b64 s[22:23], 0
	v_mov_b32_e32 v13, s29
	v_mov_b32_e32 v14, s35
	;; [unrolled: 1-line block ×4, first 2 shown]
	v_pk_mov_b32 v[4:5], v[0:1], v[0:1] op_sel:[0,1]
.LBB20_49:                              ; =>This Inner Loop Header: Depth=1
	v_mov_b32_e32 v2, v4
	v_lshlrev_b64 v[16:17], 2, v[2:3]
	v_mov_b32_e32 v2, v5
	v_add_co_u32_e32 v18, vcc, s28, v16
	v_addc_co_u32_e32 v19, vcc, v13, v17, vcc
	v_lshlrev_b64 v[20:21], 2, v[2:3]
	v_add_co_u32_e32 v22, vcc, s28, v20
	v_addc_co_u32_e32 v23, vcc, v13, v21, vcc
	global_load_dword v1, v[18:19], off
	global_load_dword v2, v[22:23], off
	v_add_u32_e32 v15, -2, v15
	v_cmp_eq_u32_e32 vcc, 0, v15
	v_add_co_u32_e64 v16, s[2:3], s34, v16
	v_add_u32_e32 v4, 0x200, v4
	v_add_u32_e32 v5, 0x200, v5
	v_addc_co_u32_e64 v17, s[2:3], v14, v17, s[2:3]
	s_or_b64 s[22:23], vcc, s[22:23]
	v_add_co_u32_e32 v18, vcc, s34, v20
	v_addc_co_u32_e32 v19, vcc, v14, v21, vcc
	s_waitcnt vmcnt(1)
	global_store_dword v[16:17], v1, off
	s_waitcnt vmcnt(1)
	global_store_dword v[18:19], v2, off
	s_andn2_b64 exec, exec, s[22:23]
	s_cbranch_execnz .LBB20_49
; %bb.50:
	s_or_b64 exec, exec, s[22:23]
	v_cmp_ne_u32_e32 vcc, v6, v7
	v_lshl_add_u32 v2, v7, 8, v0
	s_orn2_b64 s[2:3], vcc, exec
.LBB20_51:
	s_or_b64 exec, exec, s[6:7]
	s_and_b64 exec, exec, s[2:3]
	s_cbranch_execz .LBB20_54
; %bb.52:
	v_mov_b32_e32 v3, 0
	v_lshlrev_b64 v[6:7], 2, v[2:3]
	v_mov_b32_e32 v1, s29
	v_add_co_u32_e32 v4, vcc, s28, v6
	v_addc_co_u32_e32 v5, vcc, v1, v7, vcc
	v_mov_b32_e32 v1, s35
	v_add_co_u32_e32 v6, vcc, s34, v6
	v_addc_co_u32_e32 v7, vcc, v1, v7, vcc
	s_mov_b64 s[2:3], 0
.LBB20_53:                              ; =>This Inner Loop Header: Depth=1
	global_load_dword v1, v[4:5], off
	v_add_co_u32_e32 v4, vcc, 0x400, v4
	v_add_u32_e32 v2, 0x100, v2
	v_addc_co_u32_e32 v5, vcc, 0, v5, vcc
	v_cmp_le_i32_e32 vcc, s16, v2
	s_or_b64 s[2:3], vcc, s[2:3]
	s_waitcnt vmcnt(0)
	global_store_dword v[6:7], v1, off
	v_add_co_u32_e32 v6, vcc, 0x400, v6
	v_addc_co_u32_e32 v7, vcc, 0, v7, vcc
	s_andn2_b64 exec, exec, s[2:3]
	s_cbranch_execnz .LBB20_53
.LBB20_54:
	s_or_b64 exec, exec, s[4:5]
	s_barrier
.LBB20_55:
	s_lshl_b32 s16, s24, 2
	s_add_i32 s28, s16, 0
	s_add_i32 s21, s28, 4
	v_cmp_gt_i32_e64 s[2:3], s24, v0
	s_and_saveexec_b64 s[4:5], s[2:3]
	s_cbranch_execz .LBB20_61
; %bb.56:
	s_mov_b64 s[6:7], 0
	v_mov_b32_e32 v3, 0
	v_mov_b32_e32 v1, v0
	s_branch .LBB20_58
.LBB20_57:                              ;   in Loop: Header=BB20_58 Depth=1
	s_or_b64 exec, exec, s[22:23]
	v_add_u32_e32 v1, 0x100, v1
	v_cmp_le_i32_e32 vcc, s24, v1
	s_or_b64 s[6:7], vcc, s[6:7]
	s_andn2_b64 exec, exec, s[6:7]
	s_cbranch_execz .LBB20_61
.LBB20_58:                              ; =>This Loop Header: Depth=1
                                        ;     Child Loop BB20_60 Depth 2
	v_lshlrev_b32_e32 v2, 2, v1
	v_add_u32_e32 v4, 0, v2
	ds_read2_b32 v[4:5], v4 offset1:1
	v_add_u32_e32 v2, s21, v2
	s_waitcnt lgkmcnt(0)
	v_cmp_lt_i32_e32 vcc, v4, v5
	ds_write_b32 v2, v4
	s_and_saveexec_b64 s[22:23], vcc
	s_cbranch_execz .LBB20_57
; %bb.59:                               ;   in Loop: Header=BB20_58 Depth=1
	s_mov_b64 s[26:27], 0
.LBB20_60:                              ;   Parent Loop BB20_58 Depth=1
                                        ; =>  This Inner Loop Header: Depth=2
	v_mul_hi_u32 v2, s18, v4
	v_add_u32_e32 v2, v4, v2
	v_add_u32_e32 v4, s17, v4
	v_lshrrev_b32_e32 v2, s19, v2
	v_cmp_ge_i32_e32 vcc, v4, v5
	v_lshlrev_b64 v[6:7], 2, v[2:3]
	v_mov_b32_e32 v13, s15
	s_or_b64 s[26:27], vcc, s[26:27]
	v_add_co_u32_e32 v6, vcc, s14, v6
	v_addc_co_u32_e32 v7, vcc, v13, v7, vcc
	global_store_dword v[6:7], v1, off
	s_andn2_b64 exec, exec, s[26:27]
	s_cbranch_execnz .LBB20_60
	s_branch .LBB20_57
.LBB20_61:
	s_or_b64 exec, exec, s[4:5]
	v_mov_b32_e32 v1, s28
	s_waitcnt lgkmcnt(0)
	s_barrier
	ds_read_b32 v1, v1
	s_add_i32 s4, s28, s16
	v_mov_b32_e32 v2, s4
	s_andn2_b64 vcc, exec, s[8:9]
	s_waitcnt lgkmcnt(0)
	ds_write_b32 v2, v1 offset:4
	s_cbranch_vccnz .LBB20_73
; %bb.62:
	s_add_u32 s27, s10, -4
	s_addc_u32 s28, s11, -1
	s_add_u32 s29, s30, -4
	s_addc_u32 s30, s31, -1
	;; [unrolled: 2-line block ×3, first 2 shown]
	s_lshl_b32 s6, s24, 3
	v_and_b32_e32 v1, 8, v12
	v_add3_u32 v3, v10, s6, v11
	s_lshl_b32 s36, s24, 5
	v_cmp_gt_i32_e32 vcc, s25, v9
	s_mov_b32 s26, 0
	v_cmp_eq_u32_e64 s[4:5], 0, v1
	v_lshl_or_b32 v1, v0, 2, 28
	v_mul_lo_u32 v2, s20, v9
	s_lshl_b32 s35, s20, 3
	v_add3_u32 v3, v3, 0, 8
	s_add_i32 s36, s36, 32
	s_mov_b32 s37, 0x4020100
	s_branch .LBB20_64
.LBB20_63:                              ;   in Loop: Header=BB20_64 Depth=1
	s_or_b64 exec, exec, s[14:15]
	s_add_i32 s26, s26, s25
	s_cmp_ge_i32 s26, s33
	v_add_u32_e32 v2, s40, v2
	s_waitcnt lgkmcnt(0)
	s_barrier
	s_cbranch_scc1 .LBB20_73
.LBB20_64:                              ; =>This Loop Header: Depth=1
                                        ;     Child Loop BB20_68 Depth 2
                                        ;       Child Loop BB20_71 Depth 3
	s_and_saveexec_b64 s[14:15], s[0:1]
	s_cbranch_execz .LBB20_63
; %bb.65:                               ;   in Loop: Header=BB20_64 Depth=1
	s_mov_b64 s[16:17], 0
	v_mov_b32_e32 v4, v3
	v_mov_b32_e32 v5, v8
	s_branch .LBB20_68
.LBB20_66:                              ;   in Loop: Header=BB20_68 Depth=2
	s_or_b64 exec, exec, s[22:23]
.LBB20_67:                              ;   in Loop: Header=BB20_68 Depth=2
	s_or_b64 exec, exec, s[18:19]
	v_add_u32_e32 v5, 32, v5
	v_cmp_le_i32_e64 s[6:7], s24, v5
	s_or_b64 s[16:17], s[6:7], s[16:17]
	v_add_u32_e32 v4, 0x80, v4
	s_waitcnt lgkmcnt(0)
	ds_write_b32 v6, v7
	s_andn2_b64 exec, exec, s[16:17]
	s_cbranch_execz .LBB20_63
.LBB20_68:                              ;   Parent Loop BB20_64 Depth=1
                                        ; =>  This Loop Header: Depth=2
                                        ;       Child Loop BB20_71 Depth 3
	v_lshl_add_u32 v6, v5, 2, 0
	ds_read_b32 v7, v6
	s_and_saveexec_b64 s[18:19], vcc
	s_cbranch_execz .LBB20_67
; %bb.69:                               ;   in Loop: Header=BB20_68 Depth=2
	s_mov_b64 s[22:23], 0
	v_mov_b32_e32 v10, v4
	v_mov_b32_e32 v11, v2
	;; [unrolled: 1-line block ×3, first 2 shown]
	s_branch .LBB20_71
.LBB20_70:                              ;   in Loop: Header=BB20_71 Depth=3
	s_or_b64 exec, exec, s[8:9]
	ds_bpermute_b32 v13, v1, v13
	v_add_u32_e32 v12, 8, v12
	v_cmp_le_i32_e64 s[6:7], s25, v12
	v_add_u32_e32 v11, s35, v11
	s_or_b64 s[22:23], s[6:7], s[22:23]
	s_waitcnt lgkmcnt(0)
	v_add_u32_e32 v7, v13, v7
	v_add_u32_e32 v10, s36, v10
	s_andn2_b64 exec, exec, s[22:23]
	s_cbranch_execz .LBB20_66
.LBB20_71:                              ;   Parent Loop BB20_64 Depth=1
                                        ;     Parent Loop BB20_68 Depth=2
                                        ; =>    This Inner Loop Header: Depth=3
	ds_read_b32 v14, v10
	s_waitcnt lgkmcnt(0)
	v_cmp_ne_u32_e64 s[6:7], 0, v14
	v_cndmask_b32_e64 v13, 0, 1, s[6:7]
	s_nop 1
	v_mov_b32_dpp v13, v13 row_shr:1 row_mask:0xf bank_mask:0xf bound_ctrl:1
	v_addc_co_u32_e64 v15, s[8:9], 0, v13, s[6:7]
	s_nop 1
	v_mov_b32_dpp v15, v15 row_shr:2 row_mask:0xf bank_mask:0xf bound_ctrl:1
	v_addc_co_u32_e64 v13, s[8:9], v15, v13, s[6:7]
	s_nop 1
	v_add_u32_dpp v13, v13, v13 row_shr:4 row_mask:0xf bank_mask:0xf bound_ctrl:1
	s_nop 1
	v_add_u32_dpp v13, v13, v13 row_shr:8 row_mask:0xf bank_mask:0xf bound_ctrl:1
	s_nop 1
	v_mov_b32_dpp v15, v13 row_newbcast:7 row_mask:0xf bank_mask:0xf bound_ctrl:1
	v_cndmask_b32_e64 v15, v15, 0, s[4:5]
	v_sub_u32_e32 v13, v13, v15
	s_and_saveexec_b64 s[8:9], s[6:7]
	s_cbranch_execz .LBB20_70
; %bb.72:                               ;   in Loop: Header=BB20_71 Depth=3
	v_add_u32_e32 v16, v11, v14
	v_ashrrev_i32_e32 v17, 31, v16
	v_lshlrev_b64 v[16:17], 2, v[16:17]
	v_mov_b32_e32 v15, s30
	v_add_co_u32_e64 v16, s[6:7], s29, v16
	v_addc_co_u32_e64 v17, s[6:7], v15, v17, s[6:7]
	global_load_dword v18, v[16:17], off
	v_add_u32_e32 v15, s26, v12
	v_perm_b32 v14, v14, v15, s37
	v_add_u32_e32 v19, 0xff000000, v14
	v_add_u32_e32 v14, v13, v7
	v_ashrrev_i32_e32 v15, 31, v14
	v_lshlrev_b64 v[14:15], 2, v[14:15]
	v_mov_b32_e32 v17, s28
	v_add_co_u32_e64 v16, s[6:7], s27, v14
	v_addc_co_u32_e64 v17, s[6:7], v17, v15, s[6:7]
	global_store_dword v[16:17], v19, off
	v_mov_b32_e32 v16, s34
	v_add_co_u32_e64 v14, s[6:7], s31, v14
	v_addc_co_u32_e64 v15, s[6:7], v16, v15, s[6:7]
	s_waitcnt vmcnt(1)
	global_store_dword v[14:15], v18, off
	s_branch .LBB20_70
.LBB20_73:
	s_and_saveexec_b64 s[0:1], s[2:3]
	s_cbranch_execz .LBB20_84
; %bb.74:
	s_and_b32 s0, s33, 0xffffff
	s_lshl_b32 s1, s20, 24
	s_or_b32 s4, s0, s1
	s_mov_b32 s5, s4
	s_add_i32 s21, s21, 4
	s_mov_b64 s[2:3], 0
	s_mov_b32 s16, 0
	v_mov_b32_e32 v1, 0
	s_branch .LBB20_76
.LBB20_75:                              ;   in Loop: Header=BB20_76 Depth=1
	s_or_b64 exec, exec, s[8:9]
	v_add_u32_e32 v0, 0x100, v0
	v_cmp_le_i32_e32 vcc, s24, v0
	s_or_b64 s[2:3], vcc, s[2:3]
	s_andn2_b64 exec, exec, s[2:3]
	s_cbranch_execz .LBB20_84
.LBB20_76:                              ; =>This Loop Header: Depth=1
                                        ;     Child Loop BB20_79 Depth 2
                                        ;     Child Loop BB20_83 Depth 2
	v_lshlrev_b32_e32 v2, 2, v0
	v_add_u32_e32 v3, 0, v2
	v_add_u32_e32 v4, s21, v2
	ds_read_b32 v2, v3
	ds_read_b32 v8, v4
	s_waitcnt lgkmcnt(0)
	v_cmp_gt_i32_e32 vcc, v8, v2
	s_and_saveexec_b64 s[8:9], vcc
	s_cbranch_execz .LBB20_75
; %bb.77:                               ;   in Loop: Header=BB20_76 Depth=1
	v_sub_u32_e32 v3, v8, v2
	v_cmp_lt_u32_e32 vcc, 15, v3
	s_mov_b64 s[6:7], -1
	s_and_saveexec_b64 s[0:1], vcc
	s_cbranch_execz .LBB20_81
; %bb.78:                               ;   in Loop: Header=BB20_76 Depth=1
	v_and_b32_e32 v6, -16, v3
	s_mov_b64 s[14:15], 0
	v_mov_b32_e32 v4, v2
	v_mov_b32_e32 v7, v6
.LBB20_79:                              ;   Parent Loop BB20_76 Depth=1
                                        ; =>  This Inner Loop Header: Depth=2
	v_ashrrev_i32_e32 v5, 31, v4
	v_lshlrev_b64 v[14:15], 2, v[4:5]
	v_mov_b32_e32 v5, s11
	v_add_co_u32_e32 v16, vcc, s10, v14
	v_addc_co_u32_e32 v17, vcc, v5, v15, vcc
	s_mov_b32 s6, s4
	s_mov_b32 s7, s5
	v_pk_mov_b32 v[12:13], s[6:7], s[6:7] op_sel:[0,1]
	v_mov_b32_e32 v5, s13
	v_add_co_u32_e32 v14, vcc, s12, v14
	v_pk_mov_b32 v[10:11], s[4:5], s[4:5] op_sel:[0,1]
	v_addc_co_u32_e32 v15, vcc, v5, v15, vcc
	s_mov_b32 s17, s16
	v_add_u32_e32 v7, -16, v7
	global_store_dwordx4 v[16:17], v[10:13], off
	global_store_dwordx4 v[16:17], v[10:13], off offset:16
	global_store_dwordx4 v[16:17], v[10:13], off offset:32
	;; [unrolled: 1-line block ×3, first 2 shown]
	s_mov_b32 s18, s16
	s_mov_b32 s19, s16
	v_pk_mov_b32 v[10:11], s[16:17], s[16:17] op_sel:[0,1]
	v_cmp_eq_u32_e32 vcc, 0, v7
	v_pk_mov_b32 v[12:13], s[18:19], s[18:19] op_sel:[0,1]
	s_or_b64 s[14:15], vcc, s[14:15]
	v_add_u32_e32 v4, 16, v4
	global_store_dwordx4 v[14:15], v[10:13], off
	global_store_dwordx4 v[14:15], v[10:13], off offset:16
	global_store_dwordx4 v[14:15], v[10:13], off offset:32
	;; [unrolled: 1-line block ×3, first 2 shown]
	s_andn2_b64 exec, exec, s[14:15]
	s_cbranch_execnz .LBB20_79
; %bb.80:                               ;   in Loop: Header=BB20_76 Depth=1
	s_or_b64 exec, exec, s[14:15]
	v_cmp_ne_u32_e32 vcc, v3, v6
	v_add_u32_e32 v2, v2, v6
	s_orn2_b64 s[6:7], vcc, exec
.LBB20_81:                              ;   in Loop: Header=BB20_76 Depth=1
	s_or_b64 exec, exec, s[0:1]
	s_and_b64 exec, exec, s[6:7]
	s_cbranch_execz .LBB20_75
; %bb.82:                               ;   in Loop: Header=BB20_76 Depth=1
	v_ashrrev_i32_e32 v3, 31, v2
	v_lshlrev_b64 v[6:7], 2, v[2:3]
	v_mov_b32_e32 v3, s11
	v_add_co_u32_e32 v4, vcc, s10, v6
	v_addc_co_u32_e32 v5, vcc, v3, v7, vcc
	v_mov_b32_e32 v3, s13
	v_add_co_u32_e32 v6, vcc, s12, v6
	v_addc_co_u32_e32 v7, vcc, v3, v7, vcc
	s_mov_b64 s[6:7], 0
.LBB20_83:                              ;   Parent Loop BB20_76 Depth=1
                                        ; =>  This Inner Loop Header: Depth=2
	global_store_dword v[6:7], v1, off
	v_add_co_u32_e32 v6, vcc, 4, v6
	v_mov_b32_e32 v3, s4
	v_add_u32_e32 v2, 1, v2
	v_addc_co_u32_e32 v7, vcc, 0, v7, vcc
	global_store_dword v[4:5], v3, off
	v_cmp_ge_i32_e32 vcc, v2, v8
	v_add_co_u32_e64 v4, s[0:1], 4, v4
	s_or_b64 s[6:7], vcc, s[6:7]
	v_addc_co_u32_e64 v5, vcc, 0, v5, s[0:1]
	s_andn2_b64 exec, exec, s[6:7]
	s_cbranch_execnz .LBB20_83
	s_branch .LBB20_75
.LBB20_84:
	s_endpgm
	.section	.rodata,"a",@progbits
	.p2align	6, 0x0
	.amdhsa_kernel _ZN5aiter22opus_moe_sorting_entryINS_16MoeSortingKernelINS_19MoeSortingProblemExIifLi1ELb1ELb0ELb1ELb1ELi0EEEEENS4_5KargsEEEvT0_
		.amdhsa_group_segment_fixed_size 0
		.amdhsa_private_segment_fixed_size 0
		.amdhsa_kernarg_size 400
		.amdhsa_user_sgpr_count 6
		.amdhsa_user_sgpr_private_segment_buffer 1
		.amdhsa_user_sgpr_dispatch_ptr 0
		.amdhsa_user_sgpr_queue_ptr 0
		.amdhsa_user_sgpr_kernarg_segment_ptr 1
		.amdhsa_user_sgpr_dispatch_id 0
		.amdhsa_user_sgpr_flat_scratch_init 0
		.amdhsa_user_sgpr_kernarg_preload_length 0
		.amdhsa_user_sgpr_kernarg_preload_offset 0
		.amdhsa_user_sgpr_private_segment_size 0
		.amdhsa_uses_dynamic_stack 0
		.amdhsa_system_sgpr_private_segment_wavefront_offset 0
		.amdhsa_system_sgpr_workgroup_id_x 1
		.amdhsa_system_sgpr_workgroup_id_y 0
		.amdhsa_system_sgpr_workgroup_id_z 0
		.amdhsa_system_sgpr_workgroup_info 0
		.amdhsa_system_vgpr_workitem_id 0
		.amdhsa_next_free_vgpr 24
		.amdhsa_next_free_sgpr 44
		.amdhsa_accum_offset 24
		.amdhsa_reserve_vcc 1
		.amdhsa_reserve_flat_scratch 0
		.amdhsa_float_round_mode_32 0
		.amdhsa_float_round_mode_16_64 0
		.amdhsa_float_denorm_mode_32 3
		.amdhsa_float_denorm_mode_16_64 3
		.amdhsa_dx10_clamp 1
		.amdhsa_ieee_mode 1
		.amdhsa_fp16_overflow 0
		.amdhsa_tg_split 0
		.amdhsa_exception_fp_ieee_invalid_op 0
		.amdhsa_exception_fp_denorm_src 0
		.amdhsa_exception_fp_ieee_div_zero 0
		.amdhsa_exception_fp_ieee_overflow 0
		.amdhsa_exception_fp_ieee_underflow 0
		.amdhsa_exception_fp_ieee_inexact 0
		.amdhsa_exception_int_div_zero 0
	.end_amdhsa_kernel
	.section	.text._ZN5aiter22opus_moe_sorting_entryINS_16MoeSortingKernelINS_19MoeSortingProblemExIifLi1ELb1ELb0ELb1ELb1ELi0EEEEENS4_5KargsEEEvT0_,"axG",@progbits,_ZN5aiter22opus_moe_sorting_entryINS_16MoeSortingKernelINS_19MoeSortingProblemExIifLi1ELb1ELb0ELb1ELb1ELi0EEEEENS4_5KargsEEEvT0_,comdat
.Lfunc_end20:
	.size	_ZN5aiter22opus_moe_sorting_entryINS_16MoeSortingKernelINS_19MoeSortingProblemExIifLi1ELb1ELb0ELb1ELb1ELi0EEEEENS4_5KargsEEEvT0_, .Lfunc_end20-_ZN5aiter22opus_moe_sorting_entryINS_16MoeSortingKernelINS_19MoeSortingProblemExIifLi1ELb1ELb0ELb1ELb1ELi0EEEEENS4_5KargsEEEvT0_
                                        ; -- End function
	.section	.AMDGPU.csdata,"",@progbits
; Kernel info:
; codeLenInByte = 3508
; NumSgprs: 48
; NumVgprs: 24
; NumAgprs: 0
; TotalNumVgprs: 24
; ScratchSize: 0
; MemoryBound: 0
; FloatMode: 240
; IeeeMode: 1
; LDSByteSize: 0 bytes/workgroup (compile time only)
; SGPRBlocks: 5
; VGPRBlocks: 2
; NumSGPRsForWavesPerEU: 48
; NumVGPRsForWavesPerEU: 24
; AccumOffset: 24
; Occupancy: 8
; WaveLimiterHint : 1
; COMPUTE_PGM_RSRC2:SCRATCH_EN: 0
; COMPUTE_PGM_RSRC2:USER_SGPR: 6
; COMPUTE_PGM_RSRC2:TRAP_HANDLER: 0
; COMPUTE_PGM_RSRC2:TGID_X_EN: 1
; COMPUTE_PGM_RSRC2:TGID_Y_EN: 0
; COMPUTE_PGM_RSRC2:TGID_Z_EN: 0
; COMPUTE_PGM_RSRC2:TIDIG_COMP_CNT: 0
; COMPUTE_PGM_RSRC3_GFX90A:ACCUM_OFFSET: 5
; COMPUTE_PGM_RSRC3_GFX90A:TG_SPLIT: 0
	.section	.text._ZN5aiter22opus_moe_sorting_entryINS_16MoeSortingKernelINS_19MoeSortingProblemExIifLi8ELb1ELb0ELb0ELb1ELi0EEEEENS4_5KargsEEEvT0_,"axG",@progbits,_ZN5aiter22opus_moe_sorting_entryINS_16MoeSortingKernelINS_19MoeSortingProblemExIifLi8ELb1ELb0ELb0ELb1ELi0EEEEENS4_5KargsEEEvT0_,comdat
	.protected	_ZN5aiter22opus_moe_sorting_entryINS_16MoeSortingKernelINS_19MoeSortingProblemExIifLi8ELb1ELb0ELb0ELb1ELi0EEEEENS4_5KargsEEEvT0_ ; -- Begin function _ZN5aiter22opus_moe_sorting_entryINS_16MoeSortingKernelINS_19MoeSortingProblemExIifLi8ELb1ELb0ELb0ELb1ELi0EEEEENS4_5KargsEEEvT0_
	.globl	_ZN5aiter22opus_moe_sorting_entryINS_16MoeSortingKernelINS_19MoeSortingProblemExIifLi8ELb1ELb0ELb0ELb1ELi0EEEEENS4_5KargsEEEvT0_
	.p2align	8
	.type	_ZN5aiter22opus_moe_sorting_entryINS_16MoeSortingKernelINS_19MoeSortingProblemExIifLi8ELb1ELb0ELb0ELb1ELi0EEEEENS4_5KargsEEEvT0_,@function
_ZN5aiter22opus_moe_sorting_entryINS_16MoeSortingKernelINS_19MoeSortingProblemExIifLi8ELb1ELb0ELb0ELb1ELi0EEEEENS4_5KargsEEEvT0_: ; @_ZN5aiter22opus_moe_sorting_entryINS_16MoeSortingKernelINS_19MoeSortingProblemExIifLi8ELb1ELb0ELb0ELb1ELi0EEEEENS4_5KargsEEEvT0_
; %bb.0:
	s_load_dwordx8 s[24:31], s[4:5], 0x20
	s_load_dwordx8 s[36:43], s[4:5], 0x40
	s_cmp_eq_u32 s6, 0
	s_cbranch_scc1 .LBB21_7
; %bb.1:
	s_waitcnt lgkmcnt(0)
	s_cmp_eq_u64 s[36:37], 0
	s_mov_b64 s[2:3], 0
	s_cbranch_scc1 .LBB21_6
; %bb.2:
	s_mul_i32 s1, s42, s40
	s_ashr_i32 s7, s43, 31
	s_mul_hi_i32 s0, s42, s40
	s_mul_i32 s7, s1, s7
	s_mul_hi_u32 s8, s1, s43
	s_add_i32 s7, s8, s7
	s_mul_i32 s0, s0, s43
	s_add_i32 s8, s7, s0
	s_ashr_i32 s0, s8, 31
	s_mul_i32 s1, s1, s43
	s_lshr_b32 s0, s0, 28
	s_add_u32 s0, s1, s0
	s_addc_u32 s1, s8, 0
	v_lshl_add_u32 v1, s6, 8, v0
	s_ashr_i64 s[8:9], s[0:1], 4
	v_add_u32_e32 v2, 0xffffff00, v1
	v_mov_b32_e32 v3, 0
	s_mov_b32 s7, 0
	v_cmp_gt_i64_e32 vcc, s[8:9], v[2:3]
	s_and_saveexec_b64 s[10:11], vcc
	s_cbranch_execz .LBB21_5
; %bb.3:
	s_load_dword s0, s[4:5], 0x90
	v_lshlrev_b64 v[4:5], 4, v[2:3]
	v_mov_b32_e32 v1, s37
	v_add_co_u32_e32 v8, vcc, s36, v4
	s_waitcnt lgkmcnt(0)
	s_lshl_b32 s0, s0, 8
	s_add_i32 s6, s0, 0xffffff00
	s_lshl_b64 s[12:13], s[6:7], 4
	v_pk_mov_b32 v[6:7], v[2:3], v[2:3] op_sel:[0,1]
	v_addc_co_u32_e32 v9, vcc, v1, v5, vcc
	s_mov_b64 s[14:15], 0
	v_mov_b32_e32 v2, v3
	v_mov_b32_e32 v4, v3
	;; [unrolled: 1-line block ×5, first 2 shown]
.LBB21_4:                               ; =>This Inner Loop Header: Depth=1
	v_add_co_u32_e32 v6, vcc, s6, v6
	v_addc_co_u32_e32 v7, vcc, v7, v1, vcc
	global_store_dwordx4 v[8:9], v[2:5], off
	v_add_co_u32_e32 v8, vcc, s12, v8
	v_cmp_le_i64_e64 s[0:1], s[8:9], v[6:7]
	s_or_b64 s[14:15], s[0:1], s[14:15]
	v_addc_co_u32_e32 v9, vcc, v9, v10, vcc
	s_andn2_b64 exec, exec, s[14:15]
	s_cbranch_execnz .LBB21_4
.LBB21_5:
	s_or_b64 exec, exec, s[10:11]
.LBB21_6:
	s_andn2_b64 vcc, exec, s[2:3]
	s_cbranch_vccz .LBB21_8
	s_branch .LBB21_84
.LBB21_7:
.LBB21_8:
	s_load_dwordx8 s[44:51], s[4:5], 0x64
	s_load_dwordx4 s[52:55], s[4:5], 0x0
	s_load_dwordx2 s[0:1], s[4:5], 0x84
	v_lshrrev_b32_e32 v1, 6, v0
	s_waitcnt lgkmcnt(0)
	v_readfirstlane_b32 s43, v1
	s_add_i32 s33, s44, -2
	s_mul_i32 s10, s33, s41
	s_add_i32 s12, s41, 1
	v_cmp_gt_i32_e32 vcc, s10, v0
	s_and_saveexec_b64 s[2:3], vcc
	s_cbranch_execz .LBB21_18
; %bb.9:
	v_xad_u32 v2, v0, -1, s10
	s_movk_i32 s6, 0xff
	s_mov_b32 s5, 0
	s_mov_b32 s4, s0
	s_sub_i32 s0, s12, s51
	v_cmp_lt_u32_e32 vcc, s6, v2
	s_mov_b64 s[8:9], 0
                                        ; implicit-def: $vgpr1
                                        ; implicit-def: $sgpr11
	s_and_saveexec_b64 s[6:7], vcc
	s_xor_b64 s[6:7], exec, s[6:7]
	s_cbranch_execnz .LBB21_12
; %bb.10:
	s_or_saveexec_b64 s[6:7], s[6:7]
	v_mov_b32_e32 v2, s11
	s_xor_b64 exec, exec, s[6:7]
	s_cbranch_execnz .LBB21_15
.LBB21_11:
	s_or_b64 exec, exec, s[6:7]
	s_and_b64 exec, exec, s[8:9]
	s_cbranch_execnz .LBB21_16
	s_branch .LBB21_18
.LBB21_12:
	v_lshrrev_b32_e32 v1, 8, v2
	v_add_u32_e32 v4, 1, v1
	s_lshl_b32 s11, s41, 3
	v_and_b32_e32 v5, 0x1fffffe, v4
	v_add_u32_e32 v1, 0x100, v0
	s_add_i32 s8, s11, 0
	s_mov_b32 s13, s4
	s_mov_b32 s14, s1
	;; [unrolled: 1-line block ×3, first 2 shown]
	v_lshl_add_u32 v6, v0, 2, s8
	s_mov_b64 s[8:9], 0
	v_mov_b32_e32 v7, 0
	v_mov_b32_e32 v8, v5
	v_pk_mov_b32 v[2:3], v[0:1], v[0:1] op_sel:[0,1]
.LBB21_13:                              ; =>This Inner Loop Header: Depth=1
	v_mul_hi_u32 v1, s4, v2
	v_mul_hi_u32 v9, s13, v3
	v_add_u32_e32 v9, v3, v9
	v_add_u32_e32 v1, v2, v1
	v_add_u32_e32 v8, -2, v8
	v_lshrrev_b32_e32 v1, s14, v1
	v_lshrrev_b32_e32 v9, s1, v9
	v_cmp_eq_u32_e32 vcc, 0, v8
	v_mul_lo_u32 v9, v9, s15
	v_mul_lo_u32 v1, v1, s0
	v_add_u32_e32 v3, 0x200, v3
	v_add_u32_e32 v2, 0x200, v2
	s_or_b64 s[8:9], vcc, s[8:9]
	v_lshl_add_u32 v1, v1, 2, v6
	v_lshl_add_u32 v9, v9, 2, v6
	v_add_u32_e32 v6, 0x800, v6
	ds_write_b32 v1, v7 offset:8
	ds_write_b32 v9, v7 offset:1032
	s_andn2_b64 exec, exec, s[8:9]
	s_cbranch_execnz .LBB21_13
; %bb.14:
	s_or_b64 exec, exec, s[8:9]
	v_cmp_ne_u32_e32 vcc, v4, v5
	v_lshl_add_u32 v1, v5, 8, v0
	s_and_b64 s[8:9], vcc, exec
	s_or_saveexec_b64 s[6:7], s[6:7]
	v_mov_b32_e32 v2, s11
	s_xor_b64 exec, exec, s[6:7]
	s_cbranch_execz .LBB21_11
.LBB21_15:
	s_lshl_b32 s11, s41, 3
	v_mov_b32_e32 v2, s11
	s_or_b64 s[8:9], s[8:9], exec
	v_mov_b32_e32 v1, v0
	s_or_b64 exec, exec, s[6:7]
	s_and_b64 exec, exec, s[8:9]
	s_cbranch_execz .LBB21_18
.LBB21_16:
	v_lshl_add_u32 v2, v1, 2, v2
	v_mad_u64_u32 v[4:5], s[6:7], v1, s4, 0
	s_lshl_b64 s[4:5], s[4:5], 8
	s_lshl_b32 s0, s0, 2
	v_add3_u32 v2, v2, 0, 8
	s_mov_b64 s[6:7], 0
	v_mov_b32_e32 v3, 0
	v_mov_b32_e32 v6, s5
.LBB21_17:                              ; =>This Inner Loop Header: Depth=1
	v_add_co_u32_e32 v4, vcc, s4, v4
	v_add_u32_e32 v7, v1, v5
	v_add_u32_e32 v1, 0x100, v1
	v_addc_co_u32_e32 v5, vcc, v5, v6, vcc
	v_lshrrev_b32_e32 v7, s1, v7
	v_cmp_le_i32_e32 vcc, s10, v1
	v_mad_u64_u32 v[8:9], s[8:9], s0, v7, v[2:3]
	v_add_u32_e32 v2, 0x400, v2
	s_or_b64 s[6:7], vcc, s[6:7]
	ds_write_b32 v8, v3
	s_andn2_b64 exec, exec, s[6:7]
	s_cbranch_execnz .LBB21_17
.LBB21_18:
	s_or_b64 exec, exec, s[2:3]
	s_cmp_gt_i32 s40, 0
	s_mov_b32 s3, 0
	s_cselect_b64 s[22:23], -1, 0
	s_cmp_lt_i32 s40, 1
	s_mul_i32 s42, s48, s33
	s_waitcnt lgkmcnt(0)
	s_barrier
	s_cbranch_scc1 .LBB21_26
; %bb.19:
	s_lshl_b32 s0, s12, 3
	s_mov_b32 s2, s49
	s_add_i32 s13, s0, 0
	v_cmp_gt_i32_e32 vcc, s42, v0
	s_sub_i32 s14, 0, s48
	v_mad_u64_u32 v[2:3], s[0:1], v0, s49, 0
	s_lshl_b64 s[4:5], s[2:3], 8
	v_mov_b32_e32 v5, 0
	s_mov_b32 s2, 0
	s_branch .LBB21_21
.LBB21_20:                              ;   in Loop: Header=BB21_21 Depth=1
	s_or_b64 exec, exec, s[6:7]
	s_add_i32 s2, s2, s33
	s_add_i32 s3, s3, s42
	s_cmp_ge_i32 s2, s40
	s_barrier
	s_cbranch_scc1 .LBB21_26
.LBB21_21:                              ; =>This Loop Header: Depth=1
                                        ;     Child Loop BB21_24 Depth 2
	s_and_saveexec_b64 s[6:7], vcc
	s_cbranch_execz .LBB21_20
; %bb.22:                               ;   in Loop: Header=BB21_21 Depth=1
	s_mov_b64 s[8:9], 0
	v_pk_mov_b32 v[6:7], v[2:3], v[2:3] op_sel:[0,1]
	v_mov_b32_e32 v1, v0
	s_branch .LBB21_24
.LBB21_23:                              ;   in Loop: Header=BB21_24 Depth=2
	s_or_b64 exec, exec, s[10:11]
	v_add_u32_e32 v1, 0x100, v1
	v_cmp_le_i32_e64 s[0:1], s42, v1
	v_mov_b32_e32 v4, s5
	s_or_b64 s[8:9], s[0:1], s[8:9]
	v_add_co_u32_e64 v6, s[0:1], s4, v6
	v_addc_co_u32_e64 v7, s[0:1], v7, v4, s[0:1]
	s_waitcnt lgkmcnt(0)
	s_andn2_b64 exec, exec, s[8:9]
	s_cbranch_execz .LBB21_20
.LBB21_24:                              ;   Parent Loop BB21_21 Depth=1
                                        ; =>  This Inner Loop Header: Depth=2
	v_add_u32_e32 v4, v1, v7
	v_lshrrev_b32_e32 v8, s50, v4
	v_add_u32_e32 v4, s2, v8
	v_cmp_gt_i32_e64 s[0:1], s40, v4
	s_and_saveexec_b64 s[10:11], s[0:1]
	s_cbranch_execz .LBB21_23
; %bb.25:                               ;   in Loop: Header=BB21_24 Depth=2
	v_add_u32_e32 v4, s3, v1
	v_lshlrev_b64 v[10:11], 2, v[4:5]
	v_mov_b32_e32 v4, s53
	v_add_co_u32_e64 v10, s[0:1], s52, v10
	v_addc_co_u32_e64 v11, s[0:1], v4, v11, s[0:1]
	global_load_dword v4, v[10:11], off
	v_mul_lo_u32 v9, s14, v8
	v_mul_lo_u32 v8, v8, s12
	v_lshlrev_b32_e32 v8, 2, v8
	v_add3_u32 v9, v1, v9, 1
	s_waitcnt vmcnt(0)
	v_lshlrev_b32_e32 v4, 2, v4
	v_add3_u32 v4, s13, v4, v8
	ds_write_b32 v4, v9
	s_branch .LBB21_23
.LBB21_26:
	v_cmp_eq_u32_e32 vcc, 0, v0
	s_and_saveexec_b64 s[0:1], vcc
	s_cbranch_execz .LBB21_28
; %bb.27:
	v_mov_b32_e32 v1, 0
	ds_write_b32 v1, v1
.LBB21_28:
	s_or_b64 exec, exec, s[0:1]
	v_mbcnt_lo_u32_b32 v1, -1, 0
	v_and_b32_e32 v9, 7, v0
	v_mbcnt_hi_u32_b32 v12, -1, v1
	v_lshrrev_b32_e32 v8, 3, v0
	v_mul_lo_u32 v1, s12, v9
	v_cmp_gt_i32_e64 s[0:1], s41, v8
	v_lshlrev_b32_e32 v10, 2, v1
	v_lshlrev_b32_e32 v11, 2, v8
	s_and_saveexec_b64 s[34:35], s[0:1]
	s_cbranch_execz .LBB21_36
; %bb.29:
	s_cmp_gt_i32 s44, 2
	s_cselect_b64 s[4:5], -1, 0
	s_lshl_b32 s6, s41, 3
	v_lshlrev_b32_e32 v3, 2, v12
	v_add3_u32 v4, v10, s6, v11
	s_lshl_b32 s44, s41, 8
	s_lshl_b32 s49, s41, 5
	v_cndmask_b32_e64 v5, 0, 1, s[4:5]
	v_xor_b32_e32 v1, 4, v3
	v_xor_b32_e32 v2, 8, v3
	;; [unrolled: 1-line block ×3, first 2 shown]
	v_cmp_eq_u32_e64 s[2:3], 0, v9
	v_add3_u32 v4, v4, 0, 8
	s_addk_i32 s44, 0x100
	s_add_i32 s50, s49, 32
	s_mov_b64 s[36:37], 0
	v_cmp_ne_u32_e64 s[4:5], 1, v5
	v_mov_b32_e32 v5, v8
	s_branch .LBB21_31
.LBB21_30:                              ;   in Loop: Header=BB21_31 Depth=1
	s_or_b64 exec, exec, s[6:7]
	v_add_u32_e32 v5, 32, v5
	v_cmp_le_i32_e32 vcc, s41, v5
	s_or_b64 s[36:37], vcc, s[36:37]
	v_add_u32_e32 v4, 0x80, v4
	s_andn2_b64 exec, exec, s[36:37]
	s_cbranch_execz .LBB21_36
.LBB21_31:                              ; =>This Loop Header: Depth=1
                                        ;     Child Loop BB21_33 Depth 2
	s_and_b64 vcc, exec, s[4:5]
	v_mov_b32_e32 v6, 0
	s_cbranch_vccnz .LBB21_34
; %bb.32:                               ;   in Loop: Header=BB21_31 Depth=1
	s_mov_b32 s51, 0
	v_mov_b32_e32 v6, 0
	v_mov_b32_e32 v7, v4
.LBB21_33:                              ;   Parent Loop BB21_31 Depth=1
                                        ; =>  This Inner Loop Header: Depth=2
	ds_read_b32 v13, v7
	v_add_u32_e32 v14, s49, v7
	v_add_u32_e32 v15, s50, v14
	ds_read_b32 v14, v14 offset:32
	v_add_u32_e32 v16, s50, v15
	ds_read_b32 v15, v15 offset:32
	;; [unrolled: 2-line block ×3, first 2 shown]
	ds_read_b32 v18, v17 offset:32
	v_add_u32_e32 v17, s50, v17
	s_waitcnt lgkmcnt(4)
	v_cmp_ne_u32_e32 vcc, 0, v13
	v_cndmask_b32_e64 v13, 0, 1, vcc
	ds_read_b32 v19, v17 offset:32
	v_add_u32_e32 v17, s50, v17
	s_waitcnt lgkmcnt(4)
	v_cmp_ne_u32_e64 s[6:7], 0, v14
	ds_read_b32 v20, v17 offset:32
	v_add_u32_e32 v17, s50, v17
	ds_bpermute_b32 v13, v1, v13
	v_cndmask_b32_e64 v14, 0, 1, s[6:7]
	s_waitcnt lgkmcnt(5)
	v_cmp_ne_u32_e64 s[8:9], 0, v15
	ds_read_b32 v17, v17 offset:32
	v_cndmask_b32_e64 v15, 0, 1, s[8:9]
	ds_bpermute_b32 v14, v1, v14
	s_waitcnt lgkmcnt(6)
	v_cmp_ne_u32_e64 s[10:11], 0, v16
	v_cndmask_b32_e64 v16, 0, 1, s[10:11]
	ds_bpermute_b32 v15, v1, v15
	s_waitcnt lgkmcnt(6)
	v_cmp_ne_u32_e64 s[12:13], 0, v18
	;; [unrolled: 4-line block ×4, first 2 shown]
	s_waitcnt lgkmcnt(5)
	v_addc_co_u32_e64 v21, s[18:19], 0, v13, vcc
	v_cndmask_b32_e64 v20, 0, 1, s[16:17]
	ds_bpermute_b32 v19, v1, v19
	s_waitcnt lgkmcnt(5)
	v_cmp_ne_u32_e64 s[18:19], 0, v17
	v_cndmask_b32_e64 v17, 0, 1, s[18:19]
	ds_bpermute_b32 v21, v2, v21
	s_waitcnt lgkmcnt(5)
	v_addc_co_u32_e64 v22, s[20:21], 0, v14, s[6:7]
	ds_bpermute_b32 v20, v1, v20
	ds_bpermute_b32 v22, v2, v22
	s_waitcnt lgkmcnt(6)
	v_addc_co_u32_e64 v23, s[20:21], 0, v15, s[8:9]
	ds_bpermute_b32 v17, v1, v17
	;; [unrolled: 4-line block ×3, first 2 shown]
	s_waitcnt lgkmcnt(7)
	v_addc_co_u32_e64 v25, s[20:21], 0, v18, s[12:13]
	ds_bpermute_b32 v25, v2, v25
	s_waitcnt lgkmcnt(7)
	v_addc_co_u32_e64 v26, s[20:21], 0, v19, s[14:15]
	s_waitcnt lgkmcnt(6)
	v_addc_co_u32_e32 v13, vcc, v21, v13, vcc
	ds_bpermute_b32 v21, v2, v26
	s_waitcnt lgkmcnt(6)
	v_addc_co_u32_e64 v26, vcc, 0, v20, s[16:17]
	ds_bpermute_b32 v27, v3, v13
	s_waitcnt lgkmcnt(6)
	v_addc_co_u32_e64 v14, vcc, v22, v14, s[6:7]
	;; [unrolled: 3-line block ×4, first 2 shown]
	ds_bpermute_b32 v23, v2, v26
	ds_bpermute_b32 v26, v3, v15
	s_waitcnt lgkmcnt(7)
	v_addc_co_u32_e64 v16, vcc, v24, v16, s[10:11]
	ds_bpermute_b32 v24, v3, v16
	s_waitcnt lgkmcnt(7)
	v_addc_co_u32_e64 v18, vcc, v25, v18, s[12:13]
	;; [unrolled: 3-line block ×3, first 2 shown]
	s_waitcnt lgkmcnt(6)
	v_add3_u32 v6, v13, v6, v27
	ds_bpermute_b32 v13, v3, v19
	s_waitcnt lgkmcnt(6)
	v_addc_co_u32_e64 v20, vcc, v22, v20, s[16:17]
	s_waitcnt lgkmcnt(5)
	v_add3_u32 v6, v6, v14, v28
	ds_bpermute_b32 v14, v3, v20
	s_waitcnt lgkmcnt(5)
	v_addc_co_u32_e64 v17, vcc, v23, v17, s[18:19]
	s_waitcnt lgkmcnt(4)
	v_add3_u32 v6, v6, v15, v26
	ds_bpermute_b32 v15, v3, v17
	s_waitcnt lgkmcnt(4)
	v_add3_u32 v6, v6, v16, v24
	s_waitcnt lgkmcnt(3)
	v_add3_u32 v6, v6, v18, v25
	;; [unrolled: 2-line block ×3, first 2 shown]
	s_add_i32 s51, s51, 64
	s_waitcnt lgkmcnt(1)
	v_add3_u32 v6, v6, v20, v14
	v_add_u32_e32 v7, s44, v7
	s_cmp_lt_i32 s51, s33
	s_waitcnt lgkmcnt(0)
	v_add3_u32 v6, v6, v17, v15
	s_cbranch_scc1 .LBB21_33
.LBB21_34:                              ;   in Loop: Header=BB21_31 Depth=1
	s_and_saveexec_b64 s[6:7], s[2:3]
	s_cbranch_execz .LBB21_30
; %bb.35:                               ;   in Loop: Header=BB21_31 Depth=1
	v_lshl_add_u32 v7, v5, 2, 0
	ds_write_b32 v7, v6 offset:4
	s_branch .LBB21_30
.LBB21_36:
	s_or_b64 exec, exec, s[34:35]
	s_cmp_lg_u32 s43, 0
	s_mov_b32 s10, 0
	s_waitcnt lgkmcnt(0)
	s_barrier
	s_cbranch_scc1 .LBB21_45
; %bb.37:
	s_cmp_lt_i32 s41, 1
	v_mov_b32_e32 v2, 0
	s_cbranch_scc1 .LBB21_42
; %bb.38:
	v_lshlrev_b32_e32 v2, 2, v12
	v_and_b32_e32 v3, 0xc0, v2
	v_cmp_eq_u32_e32 vcc, 0, v12
	s_add_i32 s11, s45, -1
	v_add_u32_e32 v1, -4, v3
	v_cmp_lt_u32_e64 s[2:3], 15, v12
	v_add_u32_e32 v3, 0xffffffbc, v3
	v_cmp_lt_u32_e64 s[4:5], 31, v12
	v_add3_u32 v4, v2, 0, 4
	s_branch .LBB21_40
.LBB21_39:                              ;   in Loop: Header=BB21_40 Depth=1
	s_or_b64 exec, exec, s[8:9]
	s_add_i32 s10, s10, 64
	s_cmp_lt_i32 s10, s41
	v_add_u32_e32 v4, 0x100, v4
	s_waitcnt lgkmcnt(0)
	s_cbranch_scc0 .LBB21_42
.LBB21_40:                              ; =>This Inner Loop Header: Depth=1
	ds_read_b32 v5, v4
	v_mov_b32_e32 v2, s10
	v_cndmask_b32_e32 v2, 0, v2, vcc
	v_lshl_add_u32 v2, v2, 2, 0
	ds_read_b32 v2, v2
	s_waitcnt lgkmcnt(1)
	v_add_u32_e32 v5, s11, v5
	v_mul_hi_u32 v6, v5, s46
	v_add_u32_e32 v5, v5, v6
	v_lshrrev_b32_e32 v5, s47, v5
	s_waitcnt lgkmcnt(0)
	v_mad_u64_u32 v[6:7], s[6:7], v5, s45, v[2:3]
	s_nop 1
	v_add_u32_dpp v2, v6, v6 row_shr:1 row_mask:0xf bank_mask:0xf bound_ctrl:1
	v_add_u32_e32 v6, s10, v12
	v_cmp_gt_i32_e64 s[6:7], s41, v6
	v_add_u32_dpp v2, v2, v2 row_shr:2 row_mask:0xf bank_mask:0xf bound_ctrl:1
	s_nop 1
	v_add_u32_dpp v2, v2, v2 row_shr:4 row_mask:0xf bank_mask:0xf bound_ctrl:1
	s_nop 1
	v_add_u32_dpp v2, v2, v2 row_shr:8 row_mask:0xf bank_mask:0xf bound_ctrl:1
	ds_bpermute_b32 v5, v1, v2
	s_waitcnt lgkmcnt(0)
	v_cndmask_b32_e64 v5, 0, v5, s[2:3]
	v_add_u32_e32 v2, v2, v5
	ds_bpermute_b32 v5, v3, v2
	s_waitcnt lgkmcnt(0)
	v_cndmask_b32_e64 v5, 0, v5, s[4:5]
	v_add_u32_e32 v2, v2, v5
	s_and_saveexec_b64 s[8:9], s[6:7]
	s_cbranch_execz .LBB21_39
; %bb.41:                               ;   in Loop: Header=BB21_40 Depth=1
	ds_write_b32 v4, v2
	s_branch .LBB21_39
.LBB21_42:
	v_add_u32_e32 v1, s10, v12
	v_subrev_u32_e32 v1, 63, v1
	v_cmp_eq_u32_e32 vcc, s41, v1
	s_and_saveexec_b64 s[2:3], vcc
	s_cbranch_execz .LBB21_44
; %bb.43:
	v_mov_b32_e32 v1, 0
	v_mov_b32_e32 v3, s40
	global_store_dwordx2 v1, v[2:3], s[30:31]
.LBB21_44:
	s_or_b64 exec, exec, s[2:3]
.LBB21_45:
	s_cmp_eq_u64 s[38:39], 0
	s_barrier
	s_cbranch_scc1 .LBB21_55
; %bb.46:
	s_mul_i32 s10, s48, s40
	v_cmp_gt_i32_e32 vcc, s10, v0
	s_and_saveexec_b64 s[4:5], vcc
	s_cbranch_execz .LBB21_54
; %bb.47:
	v_xad_u32 v1, v0, -1, s10
	s_movk_i32 s2, 0xff
	v_cmp_lt_u32_e32 vcc, s2, v1
	s_mov_b64 s[2:3], -1
	v_mov_b32_e32 v2, v0
	s_and_saveexec_b64 s[6:7], vcc
	s_cbranch_execz .LBB21_51
; %bb.48:
	v_lshrrev_b32_e32 v1, 8, v1
	v_add_u32_e32 v6, 1, v1
	v_and_b32_e32 v7, 0x1fffffe, v6
	v_add_u32_e32 v1, 0x100, v0
	s_mov_b64 s[8:9], 0
	v_mov_b32_e32 v13, s53
	v_mov_b32_e32 v14, s39
	;; [unrolled: 1-line block ×4, first 2 shown]
	v_pk_mov_b32 v[4:5], v[0:1], v[0:1] op_sel:[0,1]
.LBB21_49:                              ; =>This Inner Loop Header: Depth=1
	v_mov_b32_e32 v2, v4
	v_lshlrev_b64 v[16:17], 2, v[2:3]
	v_mov_b32_e32 v2, v5
	v_add_co_u32_e32 v18, vcc, s52, v16
	v_addc_co_u32_e32 v19, vcc, v13, v17, vcc
	v_lshlrev_b64 v[20:21], 2, v[2:3]
	v_add_co_u32_e32 v22, vcc, s52, v20
	v_addc_co_u32_e32 v23, vcc, v13, v21, vcc
	global_load_dword v1, v[18:19], off
	global_load_dword v2, v[22:23], off
	v_add_u32_e32 v15, -2, v15
	v_cmp_eq_u32_e32 vcc, 0, v15
	v_add_co_u32_e64 v16, s[2:3], s38, v16
	v_add_u32_e32 v4, 0x200, v4
	v_add_u32_e32 v5, 0x200, v5
	v_addc_co_u32_e64 v17, s[2:3], v14, v17, s[2:3]
	s_or_b64 s[8:9], vcc, s[8:9]
	v_add_co_u32_e32 v18, vcc, s38, v20
	v_addc_co_u32_e32 v19, vcc, v14, v21, vcc
	s_waitcnt vmcnt(1)
	global_store_dword v[16:17], v1, off
	s_waitcnt vmcnt(1)
	global_store_dword v[18:19], v2, off
	s_andn2_b64 exec, exec, s[8:9]
	s_cbranch_execnz .LBB21_49
; %bb.50:
	s_or_b64 exec, exec, s[8:9]
	v_cmp_ne_u32_e32 vcc, v6, v7
	v_lshl_add_u32 v2, v7, 8, v0
	s_orn2_b64 s[2:3], vcc, exec
.LBB21_51:
	s_or_b64 exec, exec, s[6:7]
	s_and_b64 exec, exec, s[2:3]
	s_cbranch_execz .LBB21_54
; %bb.52:
	v_mov_b32_e32 v3, 0
	v_lshlrev_b64 v[6:7], 2, v[2:3]
	v_mov_b32_e32 v1, s53
	v_add_co_u32_e32 v4, vcc, s52, v6
	v_addc_co_u32_e32 v5, vcc, v1, v7, vcc
	v_mov_b32_e32 v1, s39
	v_add_co_u32_e32 v6, vcc, s38, v6
	v_addc_co_u32_e32 v7, vcc, v1, v7, vcc
	s_mov_b64 s[2:3], 0
.LBB21_53:                              ; =>This Inner Loop Header: Depth=1
	global_load_dword v1, v[4:5], off
	v_add_co_u32_e32 v4, vcc, 0x400, v4
	v_add_u32_e32 v2, 0x100, v2
	v_addc_co_u32_e32 v5, vcc, 0, v5, vcc
	v_cmp_le_i32_e32 vcc, s10, v2
	s_or_b64 s[2:3], vcc, s[2:3]
	s_waitcnt vmcnt(0)
	global_store_dword v[6:7], v1, off
	v_add_co_u32_e32 v6, vcc, 0x400, v6
	v_addc_co_u32_e32 v7, vcc, 0, v7, vcc
	s_andn2_b64 exec, exec, s[2:3]
	s_cbranch_execnz .LBB21_53
.LBB21_54:
	s_or_b64 exec, exec, s[4:5]
	s_barrier
.LBB21_55:
	s_lshl_b32 s12, s41, 2
	s_add_i32 s13, s12, 0
	s_add_i32 s18, s13, 4
	v_cmp_gt_i32_e64 s[2:3], s41, v0
	s_and_saveexec_b64 s[4:5], s[2:3]
	s_cbranch_execz .LBB21_61
; %bb.56:
	s_mov_b64 s[6:7], 0
	v_mov_b32_e32 v3, 0
	v_mov_b32_e32 v1, v0
	s_branch .LBB21_58
.LBB21_57:                              ;   in Loop: Header=BB21_58 Depth=1
	s_or_b64 exec, exec, s[8:9]
	v_add_u32_e32 v1, 0x100, v1
	v_cmp_le_i32_e32 vcc, s41, v1
	s_or_b64 s[6:7], vcc, s[6:7]
	s_andn2_b64 exec, exec, s[6:7]
	s_cbranch_execz .LBB21_61
.LBB21_58:                              ; =>This Loop Header: Depth=1
                                        ;     Child Loop BB21_60 Depth 2
	v_lshlrev_b32_e32 v2, 2, v1
	v_add_u32_e32 v4, 0, v2
	ds_read2_b32 v[4:5], v4 offset1:1
	v_add_u32_e32 v2, s18, v2
	s_waitcnt lgkmcnt(0)
	v_cmp_lt_i32_e32 vcc, v4, v5
	ds_write_b32 v2, v4
	s_and_saveexec_b64 s[8:9], vcc
	s_cbranch_execz .LBB21_57
; %bb.59:                               ;   in Loop: Header=BB21_58 Depth=1
	s_mov_b64 s[10:11], 0
.LBB21_60:                              ;   Parent Loop BB21_58 Depth=1
                                        ; =>  This Inner Loop Header: Depth=2
	v_mul_hi_u32 v2, s46, v4
	v_add_u32_e32 v2, v4, v2
	v_add_u32_e32 v4, s45, v4
	v_lshrrev_b32_e32 v2, s47, v2
	v_cmp_ge_i32_e32 vcc, v4, v5
	v_lshlrev_b64 v[6:7], 2, v[2:3]
	v_mov_b32_e32 v13, s29
	s_or_b64 s[10:11], vcc, s[10:11]
	v_add_co_u32_e32 v6, vcc, s28, v6
	v_addc_co_u32_e32 v7, vcc, v13, v7, vcc
	global_store_dword v[6:7], v1, off
	s_andn2_b64 exec, exec, s[10:11]
	s_cbranch_execnz .LBB21_60
	s_branch .LBB21_57
.LBB21_61:
	s_or_b64 exec, exec, s[4:5]
	v_mov_b32_e32 v1, s13
	s_waitcnt lgkmcnt(0)
	s_barrier
	ds_read_b32 v1, v1
	s_add_i32 s4, s13, s12
	v_mov_b32_e32 v2, s4
	s_andn2_b64 vcc, exec, s[22:23]
	s_waitcnt lgkmcnt(0)
	ds_write_b32 v2, v1 offset:4
	s_cbranch_vccnz .LBB21_73
; %bb.62:
	s_add_u32 s20, s24, -4
	s_addc_u32 s21, s25, -1
	s_add_u32 s22, s54, -4
	s_addc_u32 s23, s55, -1
	;; [unrolled: 2-line block ×3, first 2 shown]
	s_lshl_b32 s6, s41, 3
	v_and_b32_e32 v1, 8, v12
	v_add3_u32 v3, v10, s6, v11
	s_lshl_b32 s31, s41, 5
	v_cmp_gt_i32_e32 vcc, s33, v9
	s_mov_b32 s19, 0
	v_cmp_eq_u32_e64 s[4:5], 0, v1
	v_lshl_or_b32 v1, v0, 2, 28
	v_mul_lo_u32 v2, s48, v9
	s_lshl_b32 s30, s48, 3
	v_add3_u32 v3, v3, 0, 8
	s_add_i32 s31, s31, 32
	s_mov_b32 s34, 0x4020100
	s_branch .LBB21_64
.LBB21_63:                              ;   in Loop: Header=BB21_64 Depth=1
	s_or_b64 exec, exec, s[10:11]
	s_add_i32 s19, s19, s33
	s_cmp_ge_i32 s19, s40
	v_add_u32_e32 v2, s42, v2
	s_waitcnt lgkmcnt(0)
	s_barrier
	s_cbranch_scc1 .LBB21_73
.LBB21_64:                              ; =>This Loop Header: Depth=1
                                        ;     Child Loop BB21_68 Depth 2
                                        ;       Child Loop BB21_71 Depth 3
	s_and_saveexec_b64 s[10:11], s[0:1]
	s_cbranch_execz .LBB21_63
; %bb.65:                               ;   in Loop: Header=BB21_64 Depth=1
	s_mov_b64 s[12:13], 0
	v_mov_b32_e32 v4, v3
	v_mov_b32_e32 v5, v8
	s_branch .LBB21_68
.LBB21_66:                              ;   in Loop: Header=BB21_68 Depth=2
	s_or_b64 exec, exec, s[16:17]
.LBB21_67:                              ;   in Loop: Header=BB21_68 Depth=2
	s_or_b64 exec, exec, s[14:15]
	v_add_u32_e32 v5, 32, v5
	v_cmp_le_i32_e64 s[6:7], s41, v5
	s_or_b64 s[12:13], s[6:7], s[12:13]
	v_add_u32_e32 v4, 0x80, v4
	s_waitcnt lgkmcnt(0)
	ds_write_b32 v6, v7
	s_andn2_b64 exec, exec, s[12:13]
	s_cbranch_execz .LBB21_63
.LBB21_68:                              ;   Parent Loop BB21_64 Depth=1
                                        ; =>  This Loop Header: Depth=2
                                        ;       Child Loop BB21_71 Depth 3
	v_lshl_add_u32 v6, v5, 2, 0
	ds_read_b32 v7, v6
	s_and_saveexec_b64 s[14:15], vcc
	s_cbranch_execz .LBB21_67
; %bb.69:                               ;   in Loop: Header=BB21_68 Depth=2
	s_mov_b64 s[16:17], 0
	v_mov_b32_e32 v10, v4
	v_mov_b32_e32 v11, v2
	;; [unrolled: 1-line block ×3, first 2 shown]
	s_branch .LBB21_71
.LBB21_70:                              ;   in Loop: Header=BB21_71 Depth=3
	s_or_b64 exec, exec, s[8:9]
	ds_bpermute_b32 v13, v1, v13
	v_add_u32_e32 v12, 8, v12
	v_cmp_le_i32_e64 s[6:7], s33, v12
	v_add_u32_e32 v11, s30, v11
	s_or_b64 s[16:17], s[6:7], s[16:17]
	s_waitcnt lgkmcnt(0)
	v_add_u32_e32 v7, v13, v7
	v_add_u32_e32 v10, s31, v10
	s_andn2_b64 exec, exec, s[16:17]
	s_cbranch_execz .LBB21_66
.LBB21_71:                              ;   Parent Loop BB21_64 Depth=1
                                        ;     Parent Loop BB21_68 Depth=2
                                        ; =>    This Inner Loop Header: Depth=3
	ds_read_b32 v14, v10
	s_waitcnt lgkmcnt(0)
	v_cmp_ne_u32_e64 s[6:7], 0, v14
	v_cndmask_b32_e64 v13, 0, 1, s[6:7]
	s_nop 1
	v_mov_b32_dpp v13, v13 row_shr:1 row_mask:0xf bank_mask:0xf bound_ctrl:1
	v_addc_co_u32_e64 v15, s[8:9], 0, v13, s[6:7]
	s_nop 1
	v_mov_b32_dpp v15, v15 row_shr:2 row_mask:0xf bank_mask:0xf bound_ctrl:1
	v_addc_co_u32_e64 v13, s[8:9], v15, v13, s[6:7]
	s_nop 1
	v_add_u32_dpp v13, v13, v13 row_shr:4 row_mask:0xf bank_mask:0xf bound_ctrl:1
	s_nop 1
	v_add_u32_dpp v13, v13, v13 row_shr:8 row_mask:0xf bank_mask:0xf bound_ctrl:1
	s_nop 1
	v_mov_b32_dpp v15, v13 row_newbcast:7 row_mask:0xf bank_mask:0xf bound_ctrl:1
	v_cndmask_b32_e64 v15, v15, 0, s[4:5]
	v_sub_u32_e32 v13, v13, v15
	s_and_saveexec_b64 s[8:9], s[6:7]
	s_cbranch_execz .LBB21_70
; %bb.72:                               ;   in Loop: Header=BB21_71 Depth=3
	v_add_u32_e32 v16, v11, v14
	v_ashrrev_i32_e32 v17, 31, v16
	v_lshlrev_b64 v[16:17], 2, v[16:17]
	v_mov_b32_e32 v15, s23
	v_add_co_u32_e64 v16, s[6:7], s22, v16
	v_addc_co_u32_e64 v17, s[6:7], v15, v17, s[6:7]
	global_load_dword v18, v[16:17], off
	v_add_u32_e32 v15, s19, v12
	v_perm_b32 v14, v14, v15, s34
	v_add_u32_e32 v19, 0xff000000, v14
	v_add_u32_e32 v14, v13, v7
	v_ashrrev_i32_e32 v15, 31, v14
	v_lshlrev_b64 v[14:15], 2, v[14:15]
	v_mov_b32_e32 v17, s21
	v_add_co_u32_e64 v16, s[6:7], s20, v14
	v_addc_co_u32_e64 v17, s[6:7], v17, v15, s[6:7]
	global_store_dword v[16:17], v19, off
	v_mov_b32_e32 v16, s29
	v_add_co_u32_e64 v14, s[6:7], s28, v14
	v_addc_co_u32_e64 v15, s[6:7], v16, v15, s[6:7]
	s_waitcnt vmcnt(1)
	global_store_dword v[14:15], v18, off
	s_branch .LBB21_70
.LBB21_73:
	s_and_saveexec_b64 s[0:1], s[2:3]
	s_cbranch_execz .LBB21_84
; %bb.74:
	s_and_b32 s0, s40, 0xffffff
	s_lshl_b32 s1, s48, 24
	s_or_b32 s4, s1, s0
	s_mov_b32 s5, s4
	s_add_i32 s18, s18, 4
	s_mov_b64 s[2:3], 0
	s_mov_b32 s8, 0
	v_mov_b32_e32 v1, 0
	s_branch .LBB21_76
.LBB21_75:                              ;   in Loop: Header=BB21_76 Depth=1
	s_or_b64 exec, exec, s[12:13]
	v_add_u32_e32 v0, 0x100, v0
	v_cmp_le_i32_e32 vcc, s41, v0
	s_or_b64 s[2:3], vcc, s[2:3]
	s_andn2_b64 exec, exec, s[2:3]
	s_cbranch_execz .LBB21_84
.LBB21_76:                              ; =>This Loop Header: Depth=1
                                        ;     Child Loop BB21_79 Depth 2
                                        ;     Child Loop BB21_83 Depth 2
	v_lshlrev_b32_e32 v2, 2, v0
	v_add_u32_e32 v3, 0, v2
	v_add_u32_e32 v4, s18, v2
	ds_read_b32 v2, v3
	ds_read_b32 v8, v4
	s_waitcnt lgkmcnt(0)
	v_cmp_gt_i32_e32 vcc, v8, v2
	s_and_saveexec_b64 s[12:13], vcc
	s_cbranch_execz .LBB21_75
; %bb.77:                               ;   in Loop: Header=BB21_76 Depth=1
	v_sub_u32_e32 v3, v8, v2
	v_cmp_lt_u32_e32 vcc, 15, v3
	s_mov_b64 s[6:7], -1
	s_and_saveexec_b64 s[0:1], vcc
	s_cbranch_execz .LBB21_81
; %bb.78:                               ;   in Loop: Header=BB21_76 Depth=1
	v_and_b32_e32 v6, -16, v3
	s_mov_b64 s[14:15], 0
	v_mov_b32_e32 v4, v2
	v_mov_b32_e32 v7, v6
.LBB21_79:                              ;   Parent Loop BB21_76 Depth=1
                                        ; =>  This Inner Loop Header: Depth=2
	v_ashrrev_i32_e32 v5, 31, v4
	v_lshlrev_b64 v[14:15], 2, v[4:5]
	v_mov_b32_e32 v5, s25
	v_add_co_u32_e32 v16, vcc, s24, v14
	v_addc_co_u32_e32 v17, vcc, v5, v15, vcc
	s_mov_b32 s6, s4
	s_mov_b32 s7, s5
	v_pk_mov_b32 v[12:13], s[6:7], s[6:7] op_sel:[0,1]
	v_mov_b32_e32 v5, s27
	v_add_co_u32_e32 v14, vcc, s26, v14
	v_pk_mov_b32 v[10:11], s[4:5], s[4:5] op_sel:[0,1]
	v_addc_co_u32_e32 v15, vcc, v5, v15, vcc
	s_mov_b32 s10, s8
	s_mov_b32 s11, s8
	v_add_u32_e32 v7, -16, v7
	global_store_dwordx4 v[16:17], v[10:13], off
	global_store_dwordx4 v[16:17], v[10:13], off offset:16
	global_store_dwordx4 v[16:17], v[10:13], off offset:32
	;; [unrolled: 1-line block ×3, first 2 shown]
	s_mov_b32 s9, s8
	v_pk_mov_b32 v[12:13], s[10:11], s[10:11] op_sel:[0,1]
	v_cmp_eq_u32_e32 vcc, 0, v7
	v_pk_mov_b32 v[10:11], s[8:9], s[8:9] op_sel:[0,1]
	s_or_b64 s[14:15], vcc, s[14:15]
	v_add_u32_e32 v4, 16, v4
	global_store_dwordx4 v[14:15], v[10:13], off
	global_store_dwordx4 v[14:15], v[10:13], off offset:16
	global_store_dwordx4 v[14:15], v[10:13], off offset:32
	;; [unrolled: 1-line block ×3, first 2 shown]
	s_andn2_b64 exec, exec, s[14:15]
	s_cbranch_execnz .LBB21_79
; %bb.80:                               ;   in Loop: Header=BB21_76 Depth=1
	s_or_b64 exec, exec, s[14:15]
	v_cmp_ne_u32_e32 vcc, v3, v6
	v_add_u32_e32 v2, v2, v6
	s_orn2_b64 s[6:7], vcc, exec
.LBB21_81:                              ;   in Loop: Header=BB21_76 Depth=1
	s_or_b64 exec, exec, s[0:1]
	s_and_b64 exec, exec, s[6:7]
	s_cbranch_execz .LBB21_75
; %bb.82:                               ;   in Loop: Header=BB21_76 Depth=1
	v_ashrrev_i32_e32 v3, 31, v2
	v_lshlrev_b64 v[6:7], 2, v[2:3]
	v_mov_b32_e32 v3, s25
	v_add_co_u32_e32 v4, vcc, s24, v6
	v_addc_co_u32_e32 v5, vcc, v3, v7, vcc
	v_mov_b32_e32 v3, s27
	v_add_co_u32_e32 v6, vcc, s26, v6
	v_addc_co_u32_e32 v7, vcc, v3, v7, vcc
	s_mov_b64 s[6:7], 0
.LBB21_83:                              ;   Parent Loop BB21_76 Depth=1
                                        ; =>  This Inner Loop Header: Depth=2
	global_store_dword v[6:7], v1, off
	v_add_co_u32_e32 v6, vcc, 4, v6
	v_mov_b32_e32 v3, s4
	v_add_u32_e32 v2, 1, v2
	v_addc_co_u32_e32 v7, vcc, 0, v7, vcc
	global_store_dword v[4:5], v3, off
	v_cmp_ge_i32_e32 vcc, v2, v8
	v_add_co_u32_e64 v4, s[0:1], 4, v4
	s_or_b64 s[6:7], vcc, s[6:7]
	v_addc_co_u32_e64 v5, vcc, 0, v5, s[0:1]
	s_andn2_b64 exec, exec, s[6:7]
	s_cbranch_execnz .LBB21_83
	s_branch .LBB21_75
.LBB21_84:
	s_endpgm
	.section	.rodata,"a",@progbits
	.p2align	6, 0x0
	.amdhsa_kernel _ZN5aiter22opus_moe_sorting_entryINS_16MoeSortingKernelINS_19MoeSortingProblemExIifLi8ELb1ELb0ELb0ELb1ELi0EEEEENS4_5KargsEEEvT0_
		.amdhsa_group_segment_fixed_size 0
		.amdhsa_private_segment_fixed_size 0
		.amdhsa_kernarg_size 400
		.amdhsa_user_sgpr_count 6
		.amdhsa_user_sgpr_private_segment_buffer 1
		.amdhsa_user_sgpr_dispatch_ptr 0
		.amdhsa_user_sgpr_queue_ptr 0
		.amdhsa_user_sgpr_kernarg_segment_ptr 1
		.amdhsa_user_sgpr_dispatch_id 0
		.amdhsa_user_sgpr_flat_scratch_init 0
		.amdhsa_user_sgpr_kernarg_preload_length 0
		.amdhsa_user_sgpr_kernarg_preload_offset 0
		.amdhsa_user_sgpr_private_segment_size 0
		.amdhsa_uses_dynamic_stack 0
		.amdhsa_system_sgpr_private_segment_wavefront_offset 0
		.amdhsa_system_sgpr_workgroup_id_x 1
		.amdhsa_system_sgpr_workgroup_id_y 0
		.amdhsa_system_sgpr_workgroup_id_z 0
		.amdhsa_system_sgpr_workgroup_info 0
		.amdhsa_system_vgpr_workitem_id 0
		.amdhsa_next_free_vgpr 29
		.amdhsa_next_free_sgpr 56
		.amdhsa_accum_offset 32
		.amdhsa_reserve_vcc 1
		.amdhsa_reserve_flat_scratch 0
		.amdhsa_float_round_mode_32 0
		.amdhsa_float_round_mode_16_64 0
		.amdhsa_float_denorm_mode_32 3
		.amdhsa_float_denorm_mode_16_64 3
		.amdhsa_dx10_clamp 1
		.amdhsa_ieee_mode 1
		.amdhsa_fp16_overflow 0
		.amdhsa_tg_split 0
		.amdhsa_exception_fp_ieee_invalid_op 0
		.amdhsa_exception_fp_denorm_src 0
		.amdhsa_exception_fp_ieee_div_zero 0
		.amdhsa_exception_fp_ieee_overflow 0
		.amdhsa_exception_fp_ieee_underflow 0
		.amdhsa_exception_fp_ieee_inexact 0
		.amdhsa_exception_int_div_zero 0
	.end_amdhsa_kernel
	.section	.text._ZN5aiter22opus_moe_sorting_entryINS_16MoeSortingKernelINS_19MoeSortingProblemExIifLi8ELb1ELb0ELb0ELb1ELi0EEEEENS4_5KargsEEEvT0_,"axG",@progbits,_ZN5aiter22opus_moe_sorting_entryINS_16MoeSortingKernelINS_19MoeSortingProblemExIifLi8ELb1ELb0ELb0ELb1ELi0EEEEENS4_5KargsEEEvT0_,comdat
.Lfunc_end21:
	.size	_ZN5aiter22opus_moe_sorting_entryINS_16MoeSortingKernelINS_19MoeSortingProblemExIifLi8ELb1ELb0ELb0ELb1ELi0EEEEENS4_5KargsEEEvT0_, .Lfunc_end21-_ZN5aiter22opus_moe_sorting_entryINS_16MoeSortingKernelINS_19MoeSortingProblemExIifLi8ELb1ELb0ELb0ELb1ELi0EEEEENS4_5KargsEEEvT0_
                                        ; -- End function
	.section	.AMDGPU.csdata,"",@progbits
; Kernel info:
; codeLenInByte = 4132
; NumSgprs: 60
; NumVgprs: 29
; NumAgprs: 0
; TotalNumVgprs: 29
; ScratchSize: 0
; MemoryBound: 0
; FloatMode: 240
; IeeeMode: 1
; LDSByteSize: 0 bytes/workgroup (compile time only)
; SGPRBlocks: 7
; VGPRBlocks: 3
; NumSGPRsForWavesPerEU: 60
; NumVGPRsForWavesPerEU: 29
; AccumOffset: 32
; Occupancy: 8
; WaveLimiterHint : 1
; COMPUTE_PGM_RSRC2:SCRATCH_EN: 0
; COMPUTE_PGM_RSRC2:USER_SGPR: 6
; COMPUTE_PGM_RSRC2:TRAP_HANDLER: 0
; COMPUTE_PGM_RSRC2:TGID_X_EN: 1
; COMPUTE_PGM_RSRC2:TGID_Y_EN: 0
; COMPUTE_PGM_RSRC2:TGID_Z_EN: 0
; COMPUTE_PGM_RSRC2:TIDIG_COMP_CNT: 0
; COMPUTE_PGM_RSRC3_GFX90A:ACCUM_OFFSET: 7
; COMPUTE_PGM_RSRC3_GFX90A:TG_SPLIT: 0
	.section	.text._ZN5aiter22opus_moe_sorting_entryINS_16MoeSortingKernelINS_19MoeSortingProblemExIifLi4ELb1ELb0ELb0ELb1ELi0EEEEENS4_5KargsEEEvT0_,"axG",@progbits,_ZN5aiter22opus_moe_sorting_entryINS_16MoeSortingKernelINS_19MoeSortingProblemExIifLi4ELb1ELb0ELb0ELb1ELi0EEEEENS4_5KargsEEEvT0_,comdat
	.protected	_ZN5aiter22opus_moe_sorting_entryINS_16MoeSortingKernelINS_19MoeSortingProblemExIifLi4ELb1ELb0ELb0ELb1ELi0EEEEENS4_5KargsEEEvT0_ ; -- Begin function _ZN5aiter22opus_moe_sorting_entryINS_16MoeSortingKernelINS_19MoeSortingProblemExIifLi4ELb1ELb0ELb0ELb1ELi0EEEEENS4_5KargsEEEvT0_
	.globl	_ZN5aiter22opus_moe_sorting_entryINS_16MoeSortingKernelINS_19MoeSortingProblemExIifLi4ELb1ELb0ELb0ELb1ELi0EEEEENS4_5KargsEEEvT0_
	.p2align	8
	.type	_ZN5aiter22opus_moe_sorting_entryINS_16MoeSortingKernelINS_19MoeSortingProblemExIifLi4ELb1ELb0ELb0ELb1ELi0EEEEENS4_5KargsEEEvT0_,@function
_ZN5aiter22opus_moe_sorting_entryINS_16MoeSortingKernelINS_19MoeSortingProblemExIifLi4ELb1ELb0ELb0ELb1ELi0EEEEENS4_5KargsEEEvT0_: ; @_ZN5aiter22opus_moe_sorting_entryINS_16MoeSortingKernelINS_19MoeSortingProblemExIifLi4ELb1ELb0ELb0ELb1ELi0EEEEENS4_5KargsEEEvT0_
; %bb.0:
	s_load_dwordx8 s[16:23], s[4:5], 0x20
	s_load_dwordx8 s[24:31], s[4:5], 0x40
	s_cmp_eq_u32 s6, 0
	s_cbranch_scc1 .LBB22_7
; %bb.1:
	s_waitcnt lgkmcnt(0)
	s_cmp_eq_u64 s[24:25], 0
	s_mov_b64 s[2:3], 0
	s_cbranch_scc1 .LBB22_6
; %bb.2:
	s_mul_i32 s1, s30, s28
	s_ashr_i32 s7, s31, 31
	s_mul_hi_i32 s0, s30, s28
	s_mul_i32 s7, s1, s7
	s_mul_hi_u32 s8, s1, s31
	s_add_i32 s7, s8, s7
	s_mul_i32 s0, s0, s31
	s_add_i32 s8, s7, s0
	s_ashr_i32 s0, s8, 31
	s_mul_i32 s1, s1, s31
	s_lshr_b32 s0, s0, 28
	s_add_u32 s0, s1, s0
	s_addc_u32 s1, s8, 0
	v_lshl_add_u32 v1, s6, 8, v0
	s_ashr_i64 s[8:9], s[0:1], 4
	v_add_u32_e32 v2, 0xffffff00, v1
	v_mov_b32_e32 v3, 0
	s_mov_b32 s7, 0
	v_cmp_gt_i64_e32 vcc, s[8:9], v[2:3]
	s_and_saveexec_b64 s[10:11], vcc
	s_cbranch_execz .LBB22_5
; %bb.3:
	s_load_dword s0, s[4:5], 0x90
	v_lshlrev_b64 v[4:5], 4, v[2:3]
	v_mov_b32_e32 v1, s25
	v_add_co_u32_e32 v8, vcc, s24, v4
	s_waitcnt lgkmcnt(0)
	s_lshl_b32 s0, s0, 8
	s_add_i32 s6, s0, 0xffffff00
	s_lshl_b64 s[12:13], s[6:7], 4
	v_pk_mov_b32 v[6:7], v[2:3], v[2:3] op_sel:[0,1]
	v_addc_co_u32_e32 v9, vcc, v1, v5, vcc
	s_mov_b64 s[14:15], 0
	v_mov_b32_e32 v2, v3
	v_mov_b32_e32 v4, v3
	;; [unrolled: 1-line block ×5, first 2 shown]
.LBB22_4:                               ; =>This Inner Loop Header: Depth=1
	v_add_co_u32_e32 v6, vcc, s6, v6
	v_addc_co_u32_e32 v7, vcc, v7, v1, vcc
	global_store_dwordx4 v[8:9], v[2:5], off
	v_add_co_u32_e32 v8, vcc, s12, v8
	v_cmp_le_i64_e64 s[0:1], s[8:9], v[6:7]
	s_or_b64 s[14:15], s[0:1], s[14:15]
	v_addc_co_u32_e32 v9, vcc, v9, v10, vcc
	s_andn2_b64 exec, exec, s[14:15]
	s_cbranch_execnz .LBB22_4
.LBB22_5:
	s_or_b64 exec, exec, s[10:11]
.LBB22_6:
	s_andn2_b64 vcc, exec, s[2:3]
	s_cbranch_vccz .LBB22_8
	s_branch .LBB22_84
.LBB22_7:
.LBB22_8:
	s_load_dwordx8 s[36:43], s[4:5], 0x64
	s_load_dwordx4 s[44:47], s[4:5], 0x0
	s_load_dwordx2 s[0:1], s[4:5], 0x84
	v_lshrrev_b32_e32 v1, 6, v0
	v_readfirstlane_b32 s35, v1
	s_waitcnt lgkmcnt(0)
	s_add_i32 s33, s36, -2
	s_mul_i32 s10, s33, s29
	s_add_i32 s12, s29, 1
	v_cmp_gt_i32_e32 vcc, s10, v0
	s_and_saveexec_b64 s[2:3], vcc
	s_cbranch_execz .LBB22_18
; %bb.9:
	v_xad_u32 v2, v0, -1, s10
	s_movk_i32 s6, 0xff
	s_mov_b32 s5, 0
	s_mov_b32 s4, s0
	s_sub_i32 s0, s12, s43
	v_cmp_lt_u32_e32 vcc, s6, v2
	s_mov_b64 s[8:9], 0
                                        ; implicit-def: $vgpr1
                                        ; implicit-def: $sgpr11
	s_and_saveexec_b64 s[6:7], vcc
	s_xor_b64 s[6:7], exec, s[6:7]
	s_cbranch_execnz .LBB22_12
; %bb.10:
	s_or_saveexec_b64 s[6:7], s[6:7]
	v_mov_b32_e32 v2, s11
	s_xor_b64 exec, exec, s[6:7]
	s_cbranch_execnz .LBB22_15
.LBB22_11:
	s_or_b64 exec, exec, s[6:7]
	s_and_b64 exec, exec, s[8:9]
	s_cbranch_execnz .LBB22_16
	s_branch .LBB22_18
.LBB22_12:
	v_lshrrev_b32_e32 v1, 8, v2
	v_add_u32_e32 v4, 1, v1
	s_lshl_b32 s11, s29, 3
	v_and_b32_e32 v5, 0x1fffffe, v4
	v_add_u32_e32 v1, 0x100, v0
	s_add_i32 s8, s11, 0
	s_mov_b32 s13, s4
	s_mov_b32 s14, s1
	;; [unrolled: 1-line block ×3, first 2 shown]
	v_lshl_add_u32 v6, v0, 2, s8
	s_mov_b64 s[8:9], 0
	v_mov_b32_e32 v7, 0
	v_mov_b32_e32 v8, v5
	v_pk_mov_b32 v[2:3], v[0:1], v[0:1] op_sel:[0,1]
.LBB22_13:                              ; =>This Inner Loop Header: Depth=1
	v_mul_hi_u32 v1, s4, v2
	v_mul_hi_u32 v9, s13, v3
	v_add_u32_e32 v9, v3, v9
	v_add_u32_e32 v1, v2, v1
	v_add_u32_e32 v8, -2, v8
	v_lshrrev_b32_e32 v1, s14, v1
	v_lshrrev_b32_e32 v9, s1, v9
	v_cmp_eq_u32_e32 vcc, 0, v8
	v_mul_lo_u32 v9, v9, s15
	v_mul_lo_u32 v1, v1, s0
	v_add_u32_e32 v3, 0x200, v3
	v_add_u32_e32 v2, 0x200, v2
	s_or_b64 s[8:9], vcc, s[8:9]
	v_lshl_add_u32 v1, v1, 2, v6
	v_lshl_add_u32 v9, v9, 2, v6
	v_add_u32_e32 v6, 0x800, v6
	ds_write_b32 v1, v7 offset:8
	ds_write_b32 v9, v7 offset:1032
	s_andn2_b64 exec, exec, s[8:9]
	s_cbranch_execnz .LBB22_13
; %bb.14:
	s_or_b64 exec, exec, s[8:9]
	v_cmp_ne_u32_e32 vcc, v4, v5
	v_lshl_add_u32 v1, v5, 8, v0
	s_and_b64 s[8:9], vcc, exec
	s_or_saveexec_b64 s[6:7], s[6:7]
	v_mov_b32_e32 v2, s11
	s_xor_b64 exec, exec, s[6:7]
	s_cbranch_execz .LBB22_11
.LBB22_15:
	s_lshl_b32 s11, s29, 3
	v_mov_b32_e32 v2, s11
	s_or_b64 s[8:9], s[8:9], exec
	v_mov_b32_e32 v1, v0
	s_or_b64 exec, exec, s[6:7]
	s_and_b64 exec, exec, s[8:9]
	s_cbranch_execz .LBB22_18
.LBB22_16:
	v_lshl_add_u32 v2, v1, 2, v2
	v_mad_u64_u32 v[4:5], s[6:7], v1, s4, 0
	s_lshl_b64 s[4:5], s[4:5], 8
	s_lshl_b32 s0, s0, 2
	v_add3_u32 v2, v2, 0, 8
	s_mov_b64 s[6:7], 0
	v_mov_b32_e32 v3, 0
	v_mov_b32_e32 v6, s5
.LBB22_17:                              ; =>This Inner Loop Header: Depth=1
	v_add_co_u32_e32 v4, vcc, s4, v4
	v_add_u32_e32 v7, v1, v5
	v_add_u32_e32 v1, 0x100, v1
	v_addc_co_u32_e32 v5, vcc, v5, v6, vcc
	v_lshrrev_b32_e32 v7, s1, v7
	v_cmp_le_i32_e32 vcc, s10, v1
	v_mad_u64_u32 v[8:9], s[8:9], s0, v7, v[2:3]
	v_add_u32_e32 v2, 0x400, v2
	s_or_b64 s[6:7], vcc, s[6:7]
	ds_write_b32 v8, v3
	s_andn2_b64 exec, exec, s[6:7]
	s_cbranch_execnz .LBB22_17
.LBB22_18:
	s_or_b64 exec, exec, s[2:3]
	s_cmp_gt_i32 s28, 0
	s_mov_b32 s3, 0
	s_cselect_b64 s[14:15], -1, 0
	s_cmp_lt_i32 s28, 1
	s_mul_i32 s34, s40, s33
	s_waitcnt lgkmcnt(0)
	s_barrier
	s_cbranch_scc1 .LBB22_26
; %bb.19:
	s_lshl_b32 s0, s12, 3
	s_mov_b32 s2, s41
	s_add_i32 s13, s0, 0
	v_cmp_gt_i32_e32 vcc, s34, v0
	s_sub_i32 s24, 0, s40
	v_mad_u64_u32 v[2:3], s[0:1], v0, s41, 0
	s_lshl_b64 s[4:5], s[2:3], 8
	v_mov_b32_e32 v5, 0
	s_mov_b32 s2, 0
	s_branch .LBB22_21
.LBB22_20:                              ;   in Loop: Header=BB22_21 Depth=1
	s_or_b64 exec, exec, s[6:7]
	s_add_i32 s2, s2, s33
	s_add_i32 s3, s3, s34
	s_cmp_ge_i32 s2, s28
	s_barrier
	s_cbranch_scc1 .LBB22_26
.LBB22_21:                              ; =>This Loop Header: Depth=1
                                        ;     Child Loop BB22_24 Depth 2
	s_and_saveexec_b64 s[6:7], vcc
	s_cbranch_execz .LBB22_20
; %bb.22:                               ;   in Loop: Header=BB22_21 Depth=1
	s_mov_b64 s[8:9], 0
	v_pk_mov_b32 v[6:7], v[2:3], v[2:3] op_sel:[0,1]
	v_mov_b32_e32 v1, v0
	s_branch .LBB22_24
.LBB22_23:                              ;   in Loop: Header=BB22_24 Depth=2
	s_or_b64 exec, exec, s[10:11]
	v_add_u32_e32 v1, 0x100, v1
	v_cmp_le_i32_e64 s[0:1], s34, v1
	v_mov_b32_e32 v4, s5
	s_or_b64 s[8:9], s[0:1], s[8:9]
	v_add_co_u32_e64 v6, s[0:1], s4, v6
	v_addc_co_u32_e64 v7, s[0:1], v7, v4, s[0:1]
	s_waitcnt lgkmcnt(0)
	s_andn2_b64 exec, exec, s[8:9]
	s_cbranch_execz .LBB22_20
.LBB22_24:                              ;   Parent Loop BB22_21 Depth=1
                                        ; =>  This Inner Loop Header: Depth=2
	v_add_u32_e32 v4, v1, v7
	v_lshrrev_b32_e32 v8, s42, v4
	v_add_u32_e32 v4, s2, v8
	v_cmp_gt_i32_e64 s[0:1], s28, v4
	s_and_saveexec_b64 s[10:11], s[0:1]
	s_cbranch_execz .LBB22_23
; %bb.25:                               ;   in Loop: Header=BB22_24 Depth=2
	v_add_u32_e32 v4, s3, v1
	v_lshlrev_b64 v[10:11], 2, v[4:5]
	v_mov_b32_e32 v4, s45
	v_add_co_u32_e64 v10, s[0:1], s44, v10
	v_addc_co_u32_e64 v11, s[0:1], v4, v11, s[0:1]
	global_load_dword v4, v[10:11], off
	v_mul_lo_u32 v9, s24, v8
	v_mul_lo_u32 v8, v8, s12
	v_lshlrev_b32_e32 v8, 2, v8
	v_add3_u32 v9, v1, v9, 1
	s_waitcnt vmcnt(0)
	v_lshlrev_b32_e32 v4, 2, v4
	v_add3_u32 v4, s13, v4, v8
	ds_write_b32 v4, v9
	s_branch .LBB22_23
.LBB22_26:
	v_cmp_eq_u32_e32 vcc, 0, v0
	s_and_saveexec_b64 s[0:1], vcc
	s_cbranch_execz .LBB22_28
; %bb.27:
	v_mov_b32_e32 v1, 0
	ds_write_b32 v1, v1
.LBB22_28:
	s_or_b64 exec, exec, s[0:1]
	v_mbcnt_lo_u32_b32 v1, -1, 0
	v_and_b32_e32 v9, 7, v0
	v_mbcnt_hi_u32_b32 v12, -1, v1
	v_lshrrev_b32_e32 v8, 3, v0
	v_mul_lo_u32 v1, s12, v9
	v_cmp_gt_i32_e64 s[0:1], s29, v8
	v_lshlrev_b32_e32 v10, 2, v8
	v_lshlrev_b32_e32 v11, 2, v1
	s_and_saveexec_b64 s[24:25], s[0:1]
	s_cbranch_execz .LBB22_36
; %bb.29:
	s_cmp_gt_i32 s36, 2
	s_mul_i32 s6, s29, 0x68
	s_cselect_b64 s[4:5], -1, 0
	s_add_i32 s6, s6, 0
	v_add_u32_e32 v4, s6, v11
	s_mul_i32 s6, s29, 0x48
	s_add_i32 s6, s6, 0
	v_add_u32_e32 v5, s6, v11
	s_mul_i32 s6, s29, 40
	s_add_i32 s6, s6, 0
	v_add3_u32 v6, s6, v11, 40
	s_lshl_b32 s6, s29, 3
	v_lshlrev_b32_e32 v3, 2, v12
	s_lshl_b32 s36, s29, 7
	s_add_i32 s6, s6, 0
	v_cndmask_b32_e64 v13, 0, 1, s[4:5]
	v_xor_b32_e32 v1, 4, v3
	v_xor_b32_e32 v2, 8, v3
	;; [unrolled: 1-line block ×3, first 2 shown]
	v_cmp_eq_u32_e64 s[2:3], 0, v9
	v_add_u32_e32 v4, 0x68, v4
	s_addk_i32 s36, 0x80
	v_add_u32_e32 v5, 0x48, v5
	v_add3_u32 v7, s6, v11, 8
	s_mov_b64 s[30:31], 0
	v_cmp_ne_u32_e64 s[4:5], 1, v13
	v_mov_b32_e32 v13, v8
	s_branch .LBB22_31
.LBB22_30:                              ;   in Loop: Header=BB22_31 Depth=1
	s_or_b64 exec, exec, s[6:7]
	v_add_u32_e32 v13, 32, v13
	v_cmp_le_i32_e32 vcc, s29, v13
	v_add_u32_e32 v4, 0x80, v4
	v_add_u32_e32 v5, 0x80, v5
	;; [unrolled: 1-line block ×3, first 2 shown]
	s_or_b64 s[30:31], vcc, s[30:31]
	v_add_u32_e32 v7, 0x80, v7
	s_andn2_b64 exec, exec, s[30:31]
	s_cbranch_execz .LBB22_36
.LBB22_31:                              ; =>This Loop Header: Depth=1
                                        ;     Child Loop BB22_33 Depth 2
	s_and_b64 vcc, exec, s[4:5]
	v_mov_b32_e32 v14, 0
	s_cbranch_vccnz .LBB22_34
; %bb.32:                               ;   in Loop: Header=BB22_31 Depth=1
	s_mov_b32 s41, 0
	v_mov_b32_e32 v14, 0
	v_mov_b32_e32 v15, v7
	;; [unrolled: 1-line block ×5, first 2 shown]
.LBB22_33:                              ;   Parent Loop BB22_31 Depth=1
                                        ; =>  This Inner Loop Header: Depth=2
	v_add_u32_e32 v19, v15, v10
	v_add_u32_e32 v20, v16, v10
	;; [unrolled: 1-line block ×4, first 2 shown]
	ds_read_b32 v19, v19
	ds_read_b32 v20, v20
	;; [unrolled: 1-line block ×4, first 2 shown]
	s_add_i32 s41, s41, 32
	s_waitcnt lgkmcnt(3)
	v_cmp_ne_u32_e32 vcc, 0, v19
	v_cndmask_b32_e64 v19, 0, 1, vcc
	s_waitcnt lgkmcnt(2)
	v_cmp_ne_u32_e64 s[6:7], 0, v20
	v_cndmask_b32_e64 v20, 0, 1, s[6:7]
	s_waitcnt lgkmcnt(1)
	v_cmp_ne_u32_e64 s[8:9], 0, v21
	ds_bpermute_b32 v19, v1, v19
	v_cndmask_b32_e64 v21, 0, 1, s[8:9]
	s_waitcnt lgkmcnt(1)
	v_cmp_ne_u32_e64 s[10:11], 0, v22
	ds_bpermute_b32 v20, v1, v20
	v_cndmask_b32_e64 v22, 0, 1, s[10:11]
	ds_bpermute_b32 v21, v1, v21
	ds_bpermute_b32 v22, v1, v22
	s_waitcnt lgkmcnt(3)
	v_addc_co_u32_e64 v23, s[12:13], 0, v19, vcc
	s_waitcnt lgkmcnt(2)
	v_addc_co_u32_e64 v24, s[12:13], 0, v20, s[6:7]
	ds_bpermute_b32 v23, v2, v23
	s_waitcnt lgkmcnt(2)
	v_addc_co_u32_e64 v25, s[12:13], 0, v21, s[8:9]
	ds_bpermute_b32 v24, v2, v24
	;; [unrolled: 3-line block ×3, first 2 shown]
	ds_bpermute_b32 v26, v2, v26
	s_waitcnt lgkmcnt(3)
	v_addc_co_u32_e32 v19, vcc, v23, v19, vcc
	s_waitcnt lgkmcnt(2)
	v_addc_co_u32_e64 v20, vcc, v24, v20, s[6:7]
	ds_bpermute_b32 v23, v3, v19
	s_waitcnt lgkmcnt(2)
	v_addc_co_u32_e64 v21, vcc, v25, v21, s[8:9]
	ds_bpermute_b32 v24, v3, v20
	;; [unrolled: 3-line block ×3, first 2 shown]
	ds_bpermute_b32 v26, v3, v22
	s_waitcnt lgkmcnt(3)
	v_add3_u32 v14, v19, v14, v23
	s_waitcnt lgkmcnt(2)
	v_add3_u32 v14, v14, v20, v24
	v_add_u32_e32 v18, s36, v18
	s_waitcnt lgkmcnt(1)
	v_add3_u32 v14, v14, v21, v25
	v_add_u32_e32 v17, s36, v17
	v_add_u32_e32 v16, s36, v16
	;; [unrolled: 1-line block ×3, first 2 shown]
	s_cmp_lt_i32 s41, s33
	s_waitcnt lgkmcnt(0)
	v_add3_u32 v14, v14, v22, v26
	s_cbranch_scc1 .LBB22_33
.LBB22_34:                              ;   in Loop: Header=BB22_31 Depth=1
	s_and_saveexec_b64 s[6:7], s[2:3]
	s_cbranch_execz .LBB22_30
; %bb.35:                               ;   in Loop: Header=BB22_31 Depth=1
	v_lshl_add_u32 v15, v13, 2, 0
	ds_write_b32 v15, v14 offset:4
	s_branch .LBB22_30
.LBB22_36:
	s_or_b64 exec, exec, s[24:25]
	s_cmp_lg_u32 s35, 0
	s_mov_b32 s10, 0
	s_waitcnt lgkmcnt(0)
	s_barrier
	s_cbranch_scc1 .LBB22_45
; %bb.37:
	s_cmp_lt_i32 s29, 1
	v_mov_b32_e32 v2, 0
	s_cbranch_scc1 .LBB22_42
; %bb.38:
	v_lshlrev_b32_e32 v2, 2, v12
	v_and_b32_e32 v3, 0xc0, v2
	v_cmp_eq_u32_e32 vcc, 0, v12
	s_add_i32 s11, s37, -1
	v_add_u32_e32 v1, -4, v3
	v_cmp_lt_u32_e64 s[2:3], 15, v12
	v_add_u32_e32 v3, 0xffffffbc, v3
	v_cmp_lt_u32_e64 s[4:5], 31, v12
	v_add3_u32 v4, v2, 0, 4
	s_branch .LBB22_40
.LBB22_39:                              ;   in Loop: Header=BB22_40 Depth=1
	s_or_b64 exec, exec, s[8:9]
	s_add_i32 s10, s10, 64
	s_cmp_lt_i32 s10, s29
	v_add_u32_e32 v4, 0x100, v4
	s_waitcnt lgkmcnt(0)
	s_cbranch_scc0 .LBB22_42
.LBB22_40:                              ; =>This Inner Loop Header: Depth=1
	ds_read_b32 v5, v4
	v_mov_b32_e32 v2, s10
	v_cndmask_b32_e32 v2, 0, v2, vcc
	v_lshl_add_u32 v2, v2, 2, 0
	ds_read_b32 v2, v2
	s_waitcnt lgkmcnt(1)
	v_add_u32_e32 v5, s11, v5
	v_mul_hi_u32 v6, v5, s38
	v_add_u32_e32 v5, v5, v6
	v_lshrrev_b32_e32 v5, s39, v5
	s_waitcnt lgkmcnt(0)
	v_mad_u64_u32 v[6:7], s[6:7], v5, s37, v[2:3]
	s_nop 1
	v_add_u32_dpp v2, v6, v6 row_shr:1 row_mask:0xf bank_mask:0xf bound_ctrl:1
	v_add_u32_e32 v6, s10, v12
	v_cmp_gt_i32_e64 s[6:7], s29, v6
	v_add_u32_dpp v2, v2, v2 row_shr:2 row_mask:0xf bank_mask:0xf bound_ctrl:1
	s_nop 1
	v_add_u32_dpp v2, v2, v2 row_shr:4 row_mask:0xf bank_mask:0xf bound_ctrl:1
	s_nop 1
	v_add_u32_dpp v2, v2, v2 row_shr:8 row_mask:0xf bank_mask:0xf bound_ctrl:1
	ds_bpermute_b32 v5, v1, v2
	s_waitcnt lgkmcnt(0)
	v_cndmask_b32_e64 v5, 0, v5, s[2:3]
	v_add_u32_e32 v2, v2, v5
	ds_bpermute_b32 v5, v3, v2
	s_waitcnt lgkmcnt(0)
	v_cndmask_b32_e64 v5, 0, v5, s[4:5]
	v_add_u32_e32 v2, v2, v5
	s_and_saveexec_b64 s[8:9], s[6:7]
	s_cbranch_execz .LBB22_39
; %bb.41:                               ;   in Loop: Header=BB22_40 Depth=1
	ds_write_b32 v4, v2
	s_branch .LBB22_39
.LBB22_42:
	v_add_u32_e32 v1, s10, v12
	v_subrev_u32_e32 v1, 63, v1
	v_cmp_eq_u32_e32 vcc, s29, v1
	s_and_saveexec_b64 s[2:3], vcc
	s_cbranch_execz .LBB22_44
; %bb.43:
	v_mov_b32_e32 v1, 0
	v_mov_b32_e32 v3, s28
	global_store_dwordx2 v1, v[2:3], s[22:23]
.LBB22_44:
	s_or_b64 exec, exec, s[2:3]
.LBB22_45:
	s_cmp_eq_u64 s[26:27], 0
	s_barrier
	s_cbranch_scc1 .LBB22_55
; %bb.46:
	s_mul_i32 s10, s40, s28
	v_cmp_gt_i32_e32 vcc, s10, v0
	s_and_saveexec_b64 s[4:5], vcc
	s_cbranch_execz .LBB22_54
; %bb.47:
	v_xad_u32 v1, v0, -1, s10
	s_movk_i32 s2, 0xff
	v_cmp_lt_u32_e32 vcc, s2, v1
	s_mov_b64 s[2:3], -1
	v_mov_b32_e32 v2, v0
	s_and_saveexec_b64 s[6:7], vcc
	s_cbranch_execz .LBB22_51
; %bb.48:
	v_lshrrev_b32_e32 v1, 8, v1
	v_add_u32_e32 v6, 1, v1
	v_and_b32_e32 v7, 0x1fffffe, v6
	v_add_u32_e32 v1, 0x100, v0
	s_mov_b64 s[8:9], 0
	v_mov_b32_e32 v13, s45
	v_mov_b32_e32 v14, s27
	;; [unrolled: 1-line block ×4, first 2 shown]
	v_pk_mov_b32 v[4:5], v[0:1], v[0:1] op_sel:[0,1]
.LBB22_49:                              ; =>This Inner Loop Header: Depth=1
	v_mov_b32_e32 v2, v4
	v_lshlrev_b64 v[16:17], 2, v[2:3]
	v_mov_b32_e32 v2, v5
	v_add_co_u32_e32 v18, vcc, s44, v16
	v_addc_co_u32_e32 v19, vcc, v13, v17, vcc
	v_lshlrev_b64 v[20:21], 2, v[2:3]
	v_add_co_u32_e32 v22, vcc, s44, v20
	v_addc_co_u32_e32 v23, vcc, v13, v21, vcc
	global_load_dword v1, v[18:19], off
	global_load_dword v2, v[22:23], off
	v_add_u32_e32 v15, -2, v15
	v_cmp_eq_u32_e32 vcc, 0, v15
	v_add_co_u32_e64 v16, s[2:3], s26, v16
	v_add_u32_e32 v4, 0x200, v4
	v_add_u32_e32 v5, 0x200, v5
	v_addc_co_u32_e64 v17, s[2:3], v14, v17, s[2:3]
	s_or_b64 s[8:9], vcc, s[8:9]
	v_add_co_u32_e32 v18, vcc, s26, v20
	v_addc_co_u32_e32 v19, vcc, v14, v21, vcc
	s_waitcnt vmcnt(1)
	global_store_dword v[16:17], v1, off
	s_waitcnt vmcnt(1)
	global_store_dword v[18:19], v2, off
	s_andn2_b64 exec, exec, s[8:9]
	s_cbranch_execnz .LBB22_49
; %bb.50:
	s_or_b64 exec, exec, s[8:9]
	v_cmp_ne_u32_e32 vcc, v6, v7
	v_lshl_add_u32 v2, v7, 8, v0
	s_orn2_b64 s[2:3], vcc, exec
.LBB22_51:
	s_or_b64 exec, exec, s[6:7]
	s_and_b64 exec, exec, s[2:3]
	s_cbranch_execz .LBB22_54
; %bb.52:
	v_mov_b32_e32 v3, 0
	v_lshlrev_b64 v[6:7], 2, v[2:3]
	v_mov_b32_e32 v1, s45
	v_add_co_u32_e32 v4, vcc, s44, v6
	v_addc_co_u32_e32 v5, vcc, v1, v7, vcc
	v_mov_b32_e32 v1, s27
	v_add_co_u32_e32 v6, vcc, s26, v6
	v_addc_co_u32_e32 v7, vcc, v1, v7, vcc
	s_mov_b64 s[2:3], 0
.LBB22_53:                              ; =>This Inner Loop Header: Depth=1
	global_load_dword v1, v[4:5], off
	v_add_co_u32_e32 v4, vcc, 0x400, v4
	v_add_u32_e32 v2, 0x100, v2
	v_addc_co_u32_e32 v5, vcc, 0, v5, vcc
	v_cmp_le_i32_e32 vcc, s10, v2
	s_or_b64 s[2:3], vcc, s[2:3]
	s_waitcnt vmcnt(0)
	global_store_dword v[6:7], v1, off
	v_add_co_u32_e32 v6, vcc, 0x400, v6
	v_addc_co_u32_e32 v7, vcc, 0, v7, vcc
	s_andn2_b64 exec, exec, s[2:3]
	s_cbranch_execnz .LBB22_53
.LBB22_54:
	s_or_b64 exec, exec, s[4:5]
	s_barrier
.LBB22_55:
	s_lshl_b32 s12, s29, 2
	s_add_i32 s13, s12, 0
	s_add_i32 s22, s13, 4
	v_cmp_gt_i32_e64 s[2:3], s29, v0
	s_and_saveexec_b64 s[4:5], s[2:3]
	s_cbranch_execz .LBB22_61
; %bb.56:
	s_mov_b64 s[6:7], 0
	v_mov_b32_e32 v3, 0
	v_mov_b32_e32 v1, v0
	s_branch .LBB22_58
.LBB22_57:                              ;   in Loop: Header=BB22_58 Depth=1
	s_or_b64 exec, exec, s[8:9]
	v_add_u32_e32 v1, 0x100, v1
	v_cmp_le_i32_e32 vcc, s29, v1
	s_or_b64 s[6:7], vcc, s[6:7]
	s_andn2_b64 exec, exec, s[6:7]
	s_cbranch_execz .LBB22_61
.LBB22_58:                              ; =>This Loop Header: Depth=1
                                        ;     Child Loop BB22_60 Depth 2
	v_lshlrev_b32_e32 v2, 2, v1
	v_add_u32_e32 v4, 0, v2
	ds_read2_b32 v[4:5], v4 offset1:1
	v_add_u32_e32 v2, s22, v2
	s_waitcnt lgkmcnt(0)
	v_cmp_lt_i32_e32 vcc, v4, v5
	ds_write_b32 v2, v4
	s_and_saveexec_b64 s[8:9], vcc
	s_cbranch_execz .LBB22_57
; %bb.59:                               ;   in Loop: Header=BB22_58 Depth=1
	s_mov_b64 s[10:11], 0
.LBB22_60:                              ;   Parent Loop BB22_58 Depth=1
                                        ; =>  This Inner Loop Header: Depth=2
	v_mul_hi_u32 v2, s38, v4
	v_add_u32_e32 v2, v4, v2
	v_add_u32_e32 v4, s37, v4
	v_lshrrev_b32_e32 v2, s39, v2
	v_cmp_ge_i32_e32 vcc, v4, v5
	v_lshlrev_b64 v[6:7], 2, v[2:3]
	v_mov_b32_e32 v13, s21
	s_or_b64 s[10:11], vcc, s[10:11]
	v_add_co_u32_e32 v6, vcc, s20, v6
	v_addc_co_u32_e32 v7, vcc, v13, v7, vcc
	global_store_dword v[6:7], v1, off
	s_andn2_b64 exec, exec, s[10:11]
	s_cbranch_execnz .LBB22_60
	s_branch .LBB22_57
.LBB22_61:
	s_or_b64 exec, exec, s[4:5]
	v_mov_b32_e32 v1, s13
	s_waitcnt lgkmcnt(0)
	s_barrier
	ds_read_b32 v1, v1
	s_add_i32 s4, s13, s12
	v_mov_b32_e32 v2, s4
	s_andn2_b64 vcc, exec, s[14:15]
	s_waitcnt lgkmcnt(0)
	ds_write_b32 v2, v1 offset:4
	s_cbranch_vccnz .LBB22_73
; %bb.62:
	s_add_u32 s24, s16, -4
	s_addc_u32 s25, s17, -1
	s_add_u32 s26, s46, -4
	s_addc_u32 s27, s47, -1
	;; [unrolled: 2-line block ×3, first 2 shown]
	s_lshl_b32 s6, s29, 3
	v_and_b32_e32 v1, 8, v12
	v_add3_u32 v3, v11, s6, v10
	s_lshl_b32 s36, s29, 5
	v_cmp_gt_i32_e32 vcc, s33, v9
	s_mov_b32 s23, 0
	v_cmp_eq_u32_e64 s[4:5], 0, v1
	v_lshl_or_b32 v1, v0, 2, 28
	v_mul_lo_u32 v2, s40, v9
	s_lshl_b32 s35, s40, 3
	v_add3_u32 v3, v3, 0, 8
	s_add_i32 s36, s36, 32
	s_mov_b32 s37, 0x4020100
	s_branch .LBB22_64
.LBB22_63:                              ;   in Loop: Header=BB22_64 Depth=1
	s_or_b64 exec, exec, s[10:11]
	s_add_i32 s23, s23, s33
	s_cmp_ge_i32 s23, s28
	v_add_u32_e32 v2, s34, v2
	s_waitcnt lgkmcnt(0)
	s_barrier
	s_cbranch_scc1 .LBB22_73
.LBB22_64:                              ; =>This Loop Header: Depth=1
                                        ;     Child Loop BB22_68 Depth 2
                                        ;       Child Loop BB22_71 Depth 3
	s_and_saveexec_b64 s[10:11], s[0:1]
	s_cbranch_execz .LBB22_63
; %bb.65:                               ;   in Loop: Header=BB22_64 Depth=1
	s_mov_b64 s[12:13], 0
	v_mov_b32_e32 v4, v3
	v_mov_b32_e32 v5, v8
	s_branch .LBB22_68
.LBB22_66:                              ;   in Loop: Header=BB22_68 Depth=2
	s_or_b64 exec, exec, s[20:21]
.LBB22_67:                              ;   in Loop: Header=BB22_68 Depth=2
	s_or_b64 exec, exec, s[14:15]
	v_add_u32_e32 v5, 32, v5
	v_cmp_le_i32_e64 s[6:7], s29, v5
	s_or_b64 s[12:13], s[6:7], s[12:13]
	v_add_u32_e32 v4, 0x80, v4
	s_waitcnt lgkmcnt(0)
	ds_write_b32 v6, v7
	s_andn2_b64 exec, exec, s[12:13]
	s_cbranch_execz .LBB22_63
.LBB22_68:                              ;   Parent Loop BB22_64 Depth=1
                                        ; =>  This Loop Header: Depth=2
                                        ;       Child Loop BB22_71 Depth 3
	v_lshl_add_u32 v6, v5, 2, 0
	ds_read_b32 v7, v6
	s_and_saveexec_b64 s[14:15], vcc
	s_cbranch_execz .LBB22_67
; %bb.69:                               ;   in Loop: Header=BB22_68 Depth=2
	s_mov_b64 s[20:21], 0
	v_mov_b32_e32 v10, v4
	v_mov_b32_e32 v11, v2
	;; [unrolled: 1-line block ×3, first 2 shown]
	s_branch .LBB22_71
.LBB22_70:                              ;   in Loop: Header=BB22_71 Depth=3
	s_or_b64 exec, exec, s[8:9]
	ds_bpermute_b32 v13, v1, v13
	v_add_u32_e32 v12, 8, v12
	v_cmp_le_i32_e64 s[6:7], s33, v12
	v_add_u32_e32 v11, s35, v11
	s_or_b64 s[20:21], s[6:7], s[20:21]
	s_waitcnt lgkmcnt(0)
	v_add_u32_e32 v7, v13, v7
	v_add_u32_e32 v10, s36, v10
	s_andn2_b64 exec, exec, s[20:21]
	s_cbranch_execz .LBB22_66
.LBB22_71:                              ;   Parent Loop BB22_64 Depth=1
                                        ;     Parent Loop BB22_68 Depth=2
                                        ; =>    This Inner Loop Header: Depth=3
	ds_read_b32 v14, v10
	s_waitcnt lgkmcnt(0)
	v_cmp_ne_u32_e64 s[6:7], 0, v14
	v_cndmask_b32_e64 v13, 0, 1, s[6:7]
	s_nop 1
	v_mov_b32_dpp v13, v13 row_shr:1 row_mask:0xf bank_mask:0xf bound_ctrl:1
	v_addc_co_u32_e64 v15, s[8:9], 0, v13, s[6:7]
	s_nop 1
	v_mov_b32_dpp v15, v15 row_shr:2 row_mask:0xf bank_mask:0xf bound_ctrl:1
	v_addc_co_u32_e64 v13, s[8:9], v15, v13, s[6:7]
	s_nop 1
	v_add_u32_dpp v13, v13, v13 row_shr:4 row_mask:0xf bank_mask:0xf bound_ctrl:1
	s_nop 1
	v_add_u32_dpp v13, v13, v13 row_shr:8 row_mask:0xf bank_mask:0xf bound_ctrl:1
	s_nop 1
	v_mov_b32_dpp v15, v13 row_newbcast:7 row_mask:0xf bank_mask:0xf bound_ctrl:1
	v_cndmask_b32_e64 v15, v15, 0, s[4:5]
	v_sub_u32_e32 v13, v13, v15
	s_and_saveexec_b64 s[8:9], s[6:7]
	s_cbranch_execz .LBB22_70
; %bb.72:                               ;   in Loop: Header=BB22_71 Depth=3
	v_add_u32_e32 v16, v11, v14
	v_ashrrev_i32_e32 v17, 31, v16
	v_lshlrev_b64 v[16:17], 2, v[16:17]
	v_mov_b32_e32 v15, s27
	v_add_co_u32_e64 v16, s[6:7], s26, v16
	v_addc_co_u32_e64 v17, s[6:7], v15, v17, s[6:7]
	global_load_dword v18, v[16:17], off
	v_add_u32_e32 v15, s23, v12
	v_perm_b32 v14, v14, v15, s37
	v_add_u32_e32 v19, 0xff000000, v14
	v_add_u32_e32 v14, v13, v7
	v_ashrrev_i32_e32 v15, 31, v14
	v_lshlrev_b64 v[14:15], 2, v[14:15]
	v_mov_b32_e32 v17, s25
	v_add_co_u32_e64 v16, s[6:7], s24, v14
	v_addc_co_u32_e64 v17, s[6:7], v17, v15, s[6:7]
	global_store_dword v[16:17], v19, off
	v_mov_b32_e32 v16, s31
	v_add_co_u32_e64 v14, s[6:7], s30, v14
	v_addc_co_u32_e64 v15, s[6:7], v16, v15, s[6:7]
	s_waitcnt vmcnt(1)
	global_store_dword v[14:15], v18, off
	s_branch .LBB22_70
.LBB22_73:
	s_and_saveexec_b64 s[0:1], s[2:3]
	s_cbranch_execz .LBB22_84
; %bb.74:
	s_and_b32 s0, s28, 0xffffff
	s_lshl_b32 s1, s40, 24
	s_or_b32 s4, s1, s0
	s_mov_b32 s5, s4
	s_add_i32 s22, s22, 4
	s_mov_b64 s[2:3], 0
	s_mov_b32 s8, 0
	v_mov_b32_e32 v1, 0
	s_branch .LBB22_76
.LBB22_75:                              ;   in Loop: Header=BB22_76 Depth=1
	s_or_b64 exec, exec, s[12:13]
	v_add_u32_e32 v0, 0x100, v0
	v_cmp_le_i32_e32 vcc, s29, v0
	s_or_b64 s[2:3], vcc, s[2:3]
	s_andn2_b64 exec, exec, s[2:3]
	s_cbranch_execz .LBB22_84
.LBB22_76:                              ; =>This Loop Header: Depth=1
                                        ;     Child Loop BB22_79 Depth 2
                                        ;     Child Loop BB22_83 Depth 2
	v_lshlrev_b32_e32 v2, 2, v0
	v_add_u32_e32 v3, 0, v2
	v_add_u32_e32 v4, s22, v2
	ds_read_b32 v2, v3
	ds_read_b32 v8, v4
	s_waitcnt lgkmcnt(0)
	v_cmp_gt_i32_e32 vcc, v8, v2
	s_and_saveexec_b64 s[12:13], vcc
	s_cbranch_execz .LBB22_75
; %bb.77:                               ;   in Loop: Header=BB22_76 Depth=1
	v_sub_u32_e32 v3, v8, v2
	v_cmp_lt_u32_e32 vcc, 15, v3
	s_mov_b64 s[6:7], -1
	s_and_saveexec_b64 s[0:1], vcc
	s_cbranch_execz .LBB22_81
; %bb.78:                               ;   in Loop: Header=BB22_76 Depth=1
	v_and_b32_e32 v6, -16, v3
	s_mov_b64 s[14:15], 0
	v_mov_b32_e32 v4, v2
	v_mov_b32_e32 v7, v6
.LBB22_79:                              ;   Parent Loop BB22_76 Depth=1
                                        ; =>  This Inner Loop Header: Depth=2
	v_ashrrev_i32_e32 v5, 31, v4
	v_lshlrev_b64 v[14:15], 2, v[4:5]
	v_mov_b32_e32 v5, s17
	v_add_co_u32_e32 v16, vcc, s16, v14
	v_addc_co_u32_e32 v17, vcc, v5, v15, vcc
	s_mov_b32 s6, s4
	s_mov_b32 s7, s5
	v_pk_mov_b32 v[12:13], s[6:7], s[6:7] op_sel:[0,1]
	v_mov_b32_e32 v5, s19
	v_add_co_u32_e32 v14, vcc, s18, v14
	v_pk_mov_b32 v[10:11], s[4:5], s[4:5] op_sel:[0,1]
	v_addc_co_u32_e32 v15, vcc, v5, v15, vcc
	s_mov_b32 s10, s8
	s_mov_b32 s11, s8
	v_add_u32_e32 v7, -16, v7
	global_store_dwordx4 v[16:17], v[10:13], off
	global_store_dwordx4 v[16:17], v[10:13], off offset:16
	global_store_dwordx4 v[16:17], v[10:13], off offset:32
	global_store_dwordx4 v[16:17], v[10:13], off offset:48
	s_mov_b32 s9, s8
	v_pk_mov_b32 v[12:13], s[10:11], s[10:11] op_sel:[0,1]
	v_cmp_eq_u32_e32 vcc, 0, v7
	v_pk_mov_b32 v[10:11], s[8:9], s[8:9] op_sel:[0,1]
	s_or_b64 s[14:15], vcc, s[14:15]
	v_add_u32_e32 v4, 16, v4
	global_store_dwordx4 v[14:15], v[10:13], off
	global_store_dwordx4 v[14:15], v[10:13], off offset:16
	global_store_dwordx4 v[14:15], v[10:13], off offset:32
	;; [unrolled: 1-line block ×3, first 2 shown]
	s_andn2_b64 exec, exec, s[14:15]
	s_cbranch_execnz .LBB22_79
; %bb.80:                               ;   in Loop: Header=BB22_76 Depth=1
	s_or_b64 exec, exec, s[14:15]
	v_cmp_ne_u32_e32 vcc, v3, v6
	v_add_u32_e32 v2, v2, v6
	s_orn2_b64 s[6:7], vcc, exec
.LBB22_81:                              ;   in Loop: Header=BB22_76 Depth=1
	s_or_b64 exec, exec, s[0:1]
	s_and_b64 exec, exec, s[6:7]
	s_cbranch_execz .LBB22_75
; %bb.82:                               ;   in Loop: Header=BB22_76 Depth=1
	v_ashrrev_i32_e32 v3, 31, v2
	v_lshlrev_b64 v[6:7], 2, v[2:3]
	v_mov_b32_e32 v3, s17
	v_add_co_u32_e32 v4, vcc, s16, v6
	v_addc_co_u32_e32 v5, vcc, v3, v7, vcc
	v_mov_b32_e32 v3, s19
	v_add_co_u32_e32 v6, vcc, s18, v6
	v_addc_co_u32_e32 v7, vcc, v3, v7, vcc
	s_mov_b64 s[6:7], 0
.LBB22_83:                              ;   Parent Loop BB22_76 Depth=1
                                        ; =>  This Inner Loop Header: Depth=2
	global_store_dword v[6:7], v1, off
	v_add_co_u32_e32 v6, vcc, 4, v6
	v_mov_b32_e32 v3, s4
	v_add_u32_e32 v2, 1, v2
	v_addc_co_u32_e32 v7, vcc, 0, v7, vcc
	global_store_dword v[4:5], v3, off
	v_cmp_ge_i32_e32 vcc, v2, v8
	v_add_co_u32_e64 v4, s[0:1], 4, v4
	s_or_b64 s[6:7], vcc, s[6:7]
	v_addc_co_u32_e64 v5, vcc, 0, v5, s[0:1]
	s_andn2_b64 exec, exec, s[6:7]
	s_cbranch_execnz .LBB22_83
	s_branch .LBB22_75
.LBB22_84:
	s_endpgm
	.section	.rodata,"a",@progbits
	.p2align	6, 0x0
	.amdhsa_kernel _ZN5aiter22opus_moe_sorting_entryINS_16MoeSortingKernelINS_19MoeSortingProblemExIifLi4ELb1ELb0ELb0ELb1ELi0EEEEENS4_5KargsEEEvT0_
		.amdhsa_group_segment_fixed_size 0
		.amdhsa_private_segment_fixed_size 0
		.amdhsa_kernarg_size 400
		.amdhsa_user_sgpr_count 6
		.amdhsa_user_sgpr_private_segment_buffer 1
		.amdhsa_user_sgpr_dispatch_ptr 0
		.amdhsa_user_sgpr_queue_ptr 0
		.amdhsa_user_sgpr_kernarg_segment_ptr 1
		.amdhsa_user_sgpr_dispatch_id 0
		.amdhsa_user_sgpr_flat_scratch_init 0
		.amdhsa_user_sgpr_kernarg_preload_length 0
		.amdhsa_user_sgpr_kernarg_preload_offset 0
		.amdhsa_user_sgpr_private_segment_size 0
		.amdhsa_uses_dynamic_stack 0
		.amdhsa_system_sgpr_private_segment_wavefront_offset 0
		.amdhsa_system_sgpr_workgroup_id_x 1
		.amdhsa_system_sgpr_workgroup_id_y 0
		.amdhsa_system_sgpr_workgroup_id_z 0
		.amdhsa_system_sgpr_workgroup_info 0
		.amdhsa_system_vgpr_workitem_id 0
		.amdhsa_next_free_vgpr 27
		.amdhsa_next_free_sgpr 48
		.amdhsa_accum_offset 28
		.amdhsa_reserve_vcc 1
		.amdhsa_reserve_flat_scratch 0
		.amdhsa_float_round_mode_32 0
		.amdhsa_float_round_mode_16_64 0
		.amdhsa_float_denorm_mode_32 3
		.amdhsa_float_denorm_mode_16_64 3
		.amdhsa_dx10_clamp 1
		.amdhsa_ieee_mode 1
		.amdhsa_fp16_overflow 0
		.amdhsa_tg_split 0
		.amdhsa_exception_fp_ieee_invalid_op 0
		.amdhsa_exception_fp_denorm_src 0
		.amdhsa_exception_fp_ieee_div_zero 0
		.amdhsa_exception_fp_ieee_overflow 0
		.amdhsa_exception_fp_ieee_underflow 0
		.amdhsa_exception_fp_ieee_inexact 0
		.amdhsa_exception_int_div_zero 0
	.end_amdhsa_kernel
	.section	.text._ZN5aiter22opus_moe_sorting_entryINS_16MoeSortingKernelINS_19MoeSortingProblemExIifLi4ELb1ELb0ELb0ELb1ELi0EEEEENS4_5KargsEEEvT0_,"axG",@progbits,_ZN5aiter22opus_moe_sorting_entryINS_16MoeSortingKernelINS_19MoeSortingProblemExIifLi4ELb1ELb0ELb0ELb1ELi0EEEEENS4_5KargsEEEvT0_,comdat
.Lfunc_end22:
	.size	_ZN5aiter22opus_moe_sorting_entryINS_16MoeSortingKernelINS_19MoeSortingProblemExIifLi4ELb1ELb0ELb0ELb1ELi0EEEEENS4_5KargsEEEvT0_, .Lfunc_end22-_ZN5aiter22opus_moe_sorting_entryINS_16MoeSortingKernelINS_19MoeSortingProblemExIifLi4ELb1ELb0ELb0ELb1ELi0EEEEENS4_5KargsEEEvT0_
                                        ; -- End function
	.section	.AMDGPU.csdata,"",@progbits
; Kernel info:
; codeLenInByte = 3868
; NumSgprs: 52
; NumVgprs: 27
; NumAgprs: 0
; TotalNumVgprs: 27
; ScratchSize: 0
; MemoryBound: 0
; FloatMode: 240
; IeeeMode: 1
; LDSByteSize: 0 bytes/workgroup (compile time only)
; SGPRBlocks: 6
; VGPRBlocks: 3
; NumSGPRsForWavesPerEU: 52
; NumVGPRsForWavesPerEU: 27
; AccumOffset: 28
; Occupancy: 8
; WaveLimiterHint : 1
; COMPUTE_PGM_RSRC2:SCRATCH_EN: 0
; COMPUTE_PGM_RSRC2:USER_SGPR: 6
; COMPUTE_PGM_RSRC2:TRAP_HANDLER: 0
; COMPUTE_PGM_RSRC2:TGID_X_EN: 1
; COMPUTE_PGM_RSRC2:TGID_Y_EN: 0
; COMPUTE_PGM_RSRC2:TGID_Z_EN: 0
; COMPUTE_PGM_RSRC2:TIDIG_COMP_CNT: 0
; COMPUTE_PGM_RSRC3_GFX90A:ACCUM_OFFSET: 6
; COMPUTE_PGM_RSRC3_GFX90A:TG_SPLIT: 0
	.section	.text._ZN5aiter22opus_moe_sorting_entryINS_16MoeSortingKernelINS_19MoeSortingProblemExIifLi2ELb1ELb0ELb0ELb1ELi0EEEEENS4_5KargsEEEvT0_,"axG",@progbits,_ZN5aiter22opus_moe_sorting_entryINS_16MoeSortingKernelINS_19MoeSortingProblemExIifLi2ELb1ELb0ELb0ELb1ELi0EEEEENS4_5KargsEEEvT0_,comdat
	.protected	_ZN5aiter22opus_moe_sorting_entryINS_16MoeSortingKernelINS_19MoeSortingProblemExIifLi2ELb1ELb0ELb0ELb1ELi0EEEEENS4_5KargsEEEvT0_ ; -- Begin function _ZN5aiter22opus_moe_sorting_entryINS_16MoeSortingKernelINS_19MoeSortingProblemExIifLi2ELb1ELb0ELb0ELb1ELi0EEEEENS4_5KargsEEEvT0_
	.globl	_ZN5aiter22opus_moe_sorting_entryINS_16MoeSortingKernelINS_19MoeSortingProblemExIifLi2ELb1ELb0ELb0ELb1ELi0EEEEENS4_5KargsEEEvT0_
	.p2align	8
	.type	_ZN5aiter22opus_moe_sorting_entryINS_16MoeSortingKernelINS_19MoeSortingProblemExIifLi2ELb1ELb0ELb0ELb1ELi0EEEEENS4_5KargsEEEvT0_,@function
_ZN5aiter22opus_moe_sorting_entryINS_16MoeSortingKernelINS_19MoeSortingProblemExIifLi2ELb1ELb0ELb0ELb1ELi0EEEEENS4_5KargsEEEvT0_: ; @_ZN5aiter22opus_moe_sorting_entryINS_16MoeSortingKernelINS_19MoeSortingProblemExIifLi2ELb1ELb0ELb0ELb1ELi0EEEEENS4_5KargsEEEvT0_
; %bb.0:
	s_load_dwordx8 s[12:19], s[4:5], 0x20
	s_load_dwordx8 s[20:27], s[4:5], 0x40
	s_cmp_eq_u32 s6, 0
	s_cbranch_scc1 .LBB23_7
; %bb.1:
	s_waitcnt lgkmcnt(0)
	s_cmp_eq_u64 s[20:21], 0
	s_mov_b64 s[2:3], 0
	s_cbranch_scc1 .LBB23_6
; %bb.2:
	s_mul_i32 s1, s26, s24
	s_ashr_i32 s7, s27, 31
	s_mul_hi_i32 s0, s26, s24
	s_mul_i32 s7, s1, s7
	s_mul_hi_u32 s8, s1, s27
	s_add_i32 s7, s8, s7
	s_mul_i32 s0, s0, s27
	s_add_i32 s8, s7, s0
	s_ashr_i32 s0, s8, 31
	s_mul_i32 s1, s1, s27
	s_lshr_b32 s0, s0, 28
	s_add_u32 s0, s1, s0
	s_addc_u32 s1, s8, 0
	v_lshl_add_u32 v1, s6, 8, v0
	s_ashr_i64 s[8:9], s[0:1], 4
	v_add_u32_e32 v2, 0xffffff00, v1
	v_mov_b32_e32 v3, 0
	s_mov_b32 s7, 0
	v_cmp_gt_i64_e32 vcc, s[8:9], v[2:3]
	s_and_saveexec_b64 s[10:11], vcc
	s_cbranch_execz .LBB23_5
; %bb.3:
	s_load_dword s0, s[4:5], 0x90
	v_lshlrev_b64 v[4:5], 4, v[2:3]
	v_mov_b32_e32 v1, s21
	v_add_co_u32_e32 v8, vcc, s20, v4
	s_waitcnt lgkmcnt(0)
	s_lshl_b32 s0, s0, 8
	s_add_i32 s6, s0, 0xffffff00
	s_lshl_b64 s[20:21], s[6:7], 4
	v_pk_mov_b32 v[6:7], v[2:3], v[2:3] op_sel:[0,1]
	v_addc_co_u32_e32 v9, vcc, v1, v5, vcc
	s_mov_b64 s[26:27], 0
	v_mov_b32_e32 v2, v3
	v_mov_b32_e32 v4, v3
	;; [unrolled: 1-line block ×5, first 2 shown]
.LBB23_4:                               ; =>This Inner Loop Header: Depth=1
	v_add_co_u32_e32 v6, vcc, s6, v6
	v_addc_co_u32_e32 v7, vcc, v7, v1, vcc
	global_store_dwordx4 v[8:9], v[2:5], off
	v_add_co_u32_e32 v8, vcc, s20, v8
	v_cmp_le_i64_e64 s[0:1], s[8:9], v[6:7]
	s_or_b64 s[26:27], s[0:1], s[26:27]
	v_addc_co_u32_e32 v9, vcc, v9, v10, vcc
	s_andn2_b64 exec, exec, s[26:27]
	s_cbranch_execnz .LBB23_4
.LBB23_5:
	s_or_b64 exec, exec, s[10:11]
.LBB23_6:
	s_andn2_b64 vcc, exec, s[2:3]
	s_cbranch_vccz .LBB23_8
	s_branch .LBB23_84
.LBB23_7:
.LBB23_8:
	s_load_dwordx8 s[36:43], s[4:5], 0x64
	s_load_dwordx4 s[28:31], s[4:5], 0x0
	s_load_dwordx2 s[0:1], s[4:5], 0x84
	v_lshrrev_b32_e32 v1, 6, v0
	v_readfirstlane_b32 s35, v1
	s_waitcnt lgkmcnt(0)
	s_add_i32 s33, s36, -2
	s_mul_i32 s10, s33, s25
	s_add_i32 s26, s25, 1
	v_cmp_gt_i32_e32 vcc, s10, v0
	s_and_saveexec_b64 s[2:3], vcc
	s_cbranch_execz .LBB23_18
; %bb.9:
	v_xad_u32 v2, v0, -1, s10
	s_movk_i32 s6, 0xff
	s_mov_b32 s5, 0
	s_mov_b32 s4, s0
	s_sub_i32 s0, s26, s43
	v_cmp_lt_u32_e32 vcc, s6, v2
	s_mov_b64 s[8:9], 0
                                        ; implicit-def: $vgpr1
                                        ; implicit-def: $sgpr11
	s_and_saveexec_b64 s[6:7], vcc
	s_xor_b64 s[6:7], exec, s[6:7]
	s_cbranch_execnz .LBB23_12
; %bb.10:
	s_or_saveexec_b64 s[6:7], s[6:7]
	v_mov_b32_e32 v2, s11
	s_xor_b64 exec, exec, s[6:7]
	s_cbranch_execnz .LBB23_15
.LBB23_11:
	s_or_b64 exec, exec, s[6:7]
	s_and_b64 exec, exec, s[8:9]
	s_cbranch_execnz .LBB23_16
	s_branch .LBB23_18
.LBB23_12:
	v_lshrrev_b32_e32 v1, 8, v2
	v_add_u32_e32 v4, 1, v1
	s_lshl_b32 s11, s25, 3
	v_and_b32_e32 v5, 0x1fffffe, v4
	v_add_u32_e32 v1, 0x100, v0
	s_add_i32 s8, s11, 0
	s_mov_b32 s20, s4
	s_mov_b32 s21, s1
	;; [unrolled: 1-line block ×3, first 2 shown]
	v_lshl_add_u32 v6, v0, 2, s8
	s_mov_b64 s[8:9], 0
	v_mov_b32_e32 v7, 0
	v_mov_b32_e32 v8, v5
	v_pk_mov_b32 v[2:3], v[0:1], v[0:1] op_sel:[0,1]
.LBB23_13:                              ; =>This Inner Loop Header: Depth=1
	v_mul_hi_u32 v1, s4, v2
	v_mul_hi_u32 v9, s20, v3
	v_add_u32_e32 v9, v3, v9
	v_add_u32_e32 v1, v2, v1
	v_add_u32_e32 v8, -2, v8
	v_lshrrev_b32_e32 v1, s21, v1
	v_lshrrev_b32_e32 v9, s1, v9
	v_cmp_eq_u32_e32 vcc, 0, v8
	v_mul_lo_u32 v9, v9, s27
	v_mul_lo_u32 v1, v1, s0
	v_add_u32_e32 v3, 0x200, v3
	v_add_u32_e32 v2, 0x200, v2
	s_or_b64 s[8:9], vcc, s[8:9]
	v_lshl_add_u32 v1, v1, 2, v6
	v_lshl_add_u32 v9, v9, 2, v6
	v_add_u32_e32 v6, 0x800, v6
	ds_write_b32 v1, v7 offset:8
	ds_write_b32 v9, v7 offset:1032
	s_andn2_b64 exec, exec, s[8:9]
	s_cbranch_execnz .LBB23_13
; %bb.14:
	s_or_b64 exec, exec, s[8:9]
	v_cmp_ne_u32_e32 vcc, v4, v5
	v_lshl_add_u32 v1, v5, 8, v0
	s_and_b64 s[8:9], vcc, exec
	s_or_saveexec_b64 s[6:7], s[6:7]
	v_mov_b32_e32 v2, s11
	s_xor_b64 exec, exec, s[6:7]
	s_cbranch_execz .LBB23_11
.LBB23_15:
	s_lshl_b32 s11, s25, 3
	v_mov_b32_e32 v2, s11
	s_or_b64 s[8:9], s[8:9], exec
	v_mov_b32_e32 v1, v0
	s_or_b64 exec, exec, s[6:7]
	s_and_b64 exec, exec, s[8:9]
	s_cbranch_execz .LBB23_18
.LBB23_16:
	v_lshl_add_u32 v2, v1, 2, v2
	v_mad_u64_u32 v[4:5], s[6:7], v1, s4, 0
	s_lshl_b64 s[4:5], s[4:5], 8
	s_lshl_b32 s0, s0, 2
	v_add3_u32 v2, v2, 0, 8
	s_mov_b64 s[6:7], 0
	v_mov_b32_e32 v3, 0
	v_mov_b32_e32 v6, s5
.LBB23_17:                              ; =>This Inner Loop Header: Depth=1
	v_add_co_u32_e32 v4, vcc, s4, v4
	v_add_u32_e32 v7, v1, v5
	v_add_u32_e32 v1, 0x100, v1
	v_addc_co_u32_e32 v5, vcc, v5, v6, vcc
	v_lshrrev_b32_e32 v7, s1, v7
	v_cmp_le_i32_e32 vcc, s10, v1
	v_mad_u64_u32 v[8:9], s[8:9], s0, v7, v[2:3]
	v_add_u32_e32 v2, 0x400, v2
	s_or_b64 s[6:7], vcc, s[6:7]
	ds_write_b32 v8, v3
	s_andn2_b64 exec, exec, s[6:7]
	s_cbranch_execnz .LBB23_17
.LBB23_18:
	s_or_b64 exec, exec, s[2:3]
	s_cmp_gt_i32 s24, 0
	s_mov_b32 s3, 0
	s_cselect_b64 s[10:11], -1, 0
	s_cmp_lt_i32 s24, 1
	s_mul_i32 s34, s40, s33
	s_waitcnt lgkmcnt(0)
	s_barrier
	s_cbranch_scc1 .LBB23_26
; %bb.19:
	s_lshl_b32 s0, s26, 3
	s_mov_b32 s2, s41
	s_add_i32 s27, s0, 0
	v_cmp_gt_i32_e32 vcc, s34, v0
	s_sub_i32 s43, 0, s40
	v_mad_u64_u32 v[2:3], s[0:1], v0, s41, 0
	s_lshl_b64 s[4:5], s[2:3], 8
	v_mov_b32_e32 v5, 0
	s_mov_b32 s2, 0
	s_branch .LBB23_21
.LBB23_20:                              ;   in Loop: Header=BB23_21 Depth=1
	s_or_b64 exec, exec, s[6:7]
	s_add_i32 s2, s2, s33
	s_add_i32 s3, s3, s34
	s_cmp_ge_i32 s2, s24
	s_barrier
	s_cbranch_scc1 .LBB23_26
.LBB23_21:                              ; =>This Loop Header: Depth=1
                                        ;     Child Loop BB23_24 Depth 2
	s_and_saveexec_b64 s[6:7], vcc
	s_cbranch_execz .LBB23_20
; %bb.22:                               ;   in Loop: Header=BB23_21 Depth=1
	s_mov_b64 s[8:9], 0
	v_pk_mov_b32 v[6:7], v[2:3], v[2:3] op_sel:[0,1]
	v_mov_b32_e32 v1, v0
	s_branch .LBB23_24
.LBB23_23:                              ;   in Loop: Header=BB23_24 Depth=2
	s_or_b64 exec, exec, s[20:21]
	v_add_u32_e32 v1, 0x100, v1
	v_cmp_le_i32_e64 s[0:1], s34, v1
	v_mov_b32_e32 v4, s5
	s_or_b64 s[8:9], s[0:1], s[8:9]
	v_add_co_u32_e64 v6, s[0:1], s4, v6
	v_addc_co_u32_e64 v7, s[0:1], v7, v4, s[0:1]
	s_waitcnt lgkmcnt(0)
	s_andn2_b64 exec, exec, s[8:9]
	s_cbranch_execz .LBB23_20
.LBB23_24:                              ;   Parent Loop BB23_21 Depth=1
                                        ; =>  This Inner Loop Header: Depth=2
	v_add_u32_e32 v4, v1, v7
	v_lshrrev_b32_e32 v8, s42, v4
	v_add_u32_e32 v4, s2, v8
	v_cmp_gt_i32_e64 s[0:1], s24, v4
	s_and_saveexec_b64 s[20:21], s[0:1]
	s_cbranch_execz .LBB23_23
; %bb.25:                               ;   in Loop: Header=BB23_24 Depth=2
	v_add_u32_e32 v4, s3, v1
	v_lshlrev_b64 v[10:11], 2, v[4:5]
	v_mov_b32_e32 v4, s29
	v_add_co_u32_e64 v10, s[0:1], s28, v10
	v_addc_co_u32_e64 v11, s[0:1], v4, v11, s[0:1]
	global_load_dword v4, v[10:11], off
	v_mul_lo_u32 v9, s43, v8
	v_mul_lo_u32 v8, v8, s26
	v_lshlrev_b32_e32 v8, 2, v8
	v_add3_u32 v9, v1, v9, 1
	s_waitcnt vmcnt(0)
	v_lshlrev_b32_e32 v4, 2, v4
	v_add3_u32 v4, s27, v4, v8
	ds_write_b32 v4, v9
	s_branch .LBB23_23
.LBB23_26:
	v_cmp_eq_u32_e32 vcc, 0, v0
	s_and_saveexec_b64 s[0:1], vcc
	s_cbranch_execz .LBB23_28
; %bb.27:
	v_mov_b32_e32 v1, 0
	ds_write_b32 v1, v1
.LBB23_28:
	s_or_b64 exec, exec, s[0:1]
	v_mbcnt_lo_u32_b32 v1, -1, 0
	v_and_b32_e32 v9, 7, v0
	v_mbcnt_hi_u32_b32 v12, -1, v1
	v_lshrrev_b32_e32 v8, 3, v0
	v_mul_lo_u32 v1, s26, v9
	v_cmp_gt_i32_e64 s[0:1], s25, v8
	v_lshlrev_b32_e32 v10, 2, v1
	v_lshlrev_b32_e32 v11, 2, v8
	s_and_saveexec_b64 s[20:21], s[0:1]
	s_cbranch_execz .LBB23_36
; %bb.29:
	s_cmp_gt_i32 s36, 2
	s_mul_i32 s4, s25, 40
	v_add3_u32 v4, v10, s4, v11
	s_cselect_b64 s[4:5], -1, 0
	s_lshl_b32 s6, s25, 3
	v_lshlrev_b32_e32 v3, 2, v12
	s_lshl_b32 s36, s25, 6
	v_add3_u32 v5, v10, s6, v11
	v_cndmask_b32_e64 v6, 0, 1, s[4:5]
	v_xor_b32_e32 v1, 4, v3
	v_xor_b32_e32 v2, 8, v3
	;; [unrolled: 1-line block ×3, first 2 shown]
	v_cmp_eq_u32_e64 s[2:3], 0, v9
	v_add3_u32 v4, v4, 0, 40
	s_add_i32 s36, s36, 64
	v_add3_u32 v5, v5, 0, 8
	s_mov_b64 s[26:27], 0
	v_cmp_ne_u32_e64 s[4:5], 1, v6
	v_mov_b32_e32 v6, v8
	s_branch .LBB23_31
.LBB23_30:                              ;   in Loop: Header=BB23_31 Depth=1
	s_or_b64 exec, exec, s[6:7]
	v_add_u32_e32 v6, 32, v6
	v_cmp_le_i32_e32 vcc, s25, v6
	v_add_u32_e32 v4, 0x80, v4
	s_or_b64 s[26:27], vcc, s[26:27]
	v_add_u32_e32 v5, 0x80, v5
	s_andn2_b64 exec, exec, s[26:27]
	s_cbranch_execz .LBB23_36
.LBB23_31:                              ; =>This Loop Header: Depth=1
                                        ;     Child Loop BB23_33 Depth 2
	s_and_b64 vcc, exec, s[4:5]
	v_mov_b32_e32 v7, 0
	s_cbranch_vccnz .LBB23_34
; %bb.32:                               ;   in Loop: Header=BB23_31 Depth=1
	s_mov_b32 s41, 0
	v_mov_b32_e32 v7, 0
	s_mov_b32 s42, 0
.LBB23_33:                              ;   Parent Loop BB23_31 Depth=1
                                        ; =>  This Inner Loop Header: Depth=2
	v_add_u32_e32 v13, s41, v5
	v_add_u32_e32 v14, s41, v4
	ds_read_b32 v13, v13
	ds_read_b32 v14, v14
	s_add_i32 s42, s42, 16
	s_add_i32 s41, s41, s36
	s_cmp_lt_i32 s42, s33
	s_waitcnt lgkmcnt(1)
	v_cmp_ne_u32_e32 vcc, 0, v13
	v_cndmask_b32_e64 v13, 0, 1, vcc
	s_waitcnt lgkmcnt(0)
	v_cmp_ne_u32_e64 s[6:7], 0, v14
	v_cndmask_b32_e64 v14, 0, 1, s[6:7]
	ds_bpermute_b32 v13, v1, v13
	ds_bpermute_b32 v14, v1, v14
	s_waitcnt lgkmcnt(1)
	v_addc_co_u32_e64 v15, s[8:9], 0, v13, vcc
	s_waitcnt lgkmcnt(0)
	v_addc_co_u32_e64 v16, s[8:9], 0, v14, s[6:7]
	ds_bpermute_b32 v15, v2, v15
	ds_bpermute_b32 v16, v2, v16
	s_waitcnt lgkmcnt(1)
	v_addc_co_u32_e32 v13, vcc, v15, v13, vcc
	s_waitcnt lgkmcnt(0)
	v_addc_co_u32_e64 v14, vcc, v16, v14, s[6:7]
	ds_bpermute_b32 v15, v3, v13
	ds_bpermute_b32 v16, v3, v14
	s_waitcnt lgkmcnt(1)
	v_add3_u32 v7, v13, v7, v15
	s_waitcnt lgkmcnt(0)
	v_add3_u32 v7, v7, v14, v16
	s_cbranch_scc1 .LBB23_33
.LBB23_34:                              ;   in Loop: Header=BB23_31 Depth=1
	s_and_saveexec_b64 s[6:7], s[2:3]
	s_cbranch_execz .LBB23_30
; %bb.35:                               ;   in Loop: Header=BB23_31 Depth=1
	v_lshl_add_u32 v13, v6, 2, 0
	ds_write_b32 v13, v7 offset:4
	s_branch .LBB23_30
.LBB23_36:
	s_or_b64 exec, exec, s[20:21]
	s_cmp_lg_u32 s35, 0
	s_mov_b32 s20, 0
	s_waitcnt lgkmcnt(0)
	s_barrier
	s_cbranch_scc1 .LBB23_45
; %bb.37:
	s_cmp_lt_i32 s25, 1
	v_mov_b32_e32 v2, 0
	s_cbranch_scc1 .LBB23_42
; %bb.38:
	v_lshlrev_b32_e32 v2, 2, v12
	v_and_b32_e32 v3, 0xc0, v2
	v_cmp_eq_u32_e32 vcc, 0, v12
	s_add_i32 s21, s37, -1
	v_add_u32_e32 v1, -4, v3
	v_cmp_lt_u32_e64 s[2:3], 15, v12
	v_add_u32_e32 v3, 0xffffffbc, v3
	v_cmp_lt_u32_e64 s[4:5], 31, v12
	v_add3_u32 v4, v2, 0, 4
	s_branch .LBB23_40
.LBB23_39:                              ;   in Loop: Header=BB23_40 Depth=1
	s_or_b64 exec, exec, s[8:9]
	s_add_i32 s20, s20, 64
	s_cmp_lt_i32 s20, s25
	v_add_u32_e32 v4, 0x100, v4
	s_waitcnt lgkmcnt(0)
	s_cbranch_scc0 .LBB23_42
.LBB23_40:                              ; =>This Inner Loop Header: Depth=1
	ds_read_b32 v5, v4
	v_mov_b32_e32 v2, s20
	v_cndmask_b32_e32 v2, 0, v2, vcc
	v_lshl_add_u32 v2, v2, 2, 0
	ds_read_b32 v2, v2
	s_waitcnt lgkmcnt(1)
	v_add_u32_e32 v5, s21, v5
	v_mul_hi_u32 v6, v5, s38
	v_add_u32_e32 v5, v5, v6
	v_lshrrev_b32_e32 v5, s39, v5
	s_waitcnt lgkmcnt(0)
	v_mad_u64_u32 v[6:7], s[6:7], v5, s37, v[2:3]
	s_nop 1
	v_add_u32_dpp v2, v6, v6 row_shr:1 row_mask:0xf bank_mask:0xf bound_ctrl:1
	v_add_u32_e32 v6, s20, v12
	v_cmp_gt_i32_e64 s[6:7], s25, v6
	v_add_u32_dpp v2, v2, v2 row_shr:2 row_mask:0xf bank_mask:0xf bound_ctrl:1
	s_nop 1
	v_add_u32_dpp v2, v2, v2 row_shr:4 row_mask:0xf bank_mask:0xf bound_ctrl:1
	s_nop 1
	v_add_u32_dpp v2, v2, v2 row_shr:8 row_mask:0xf bank_mask:0xf bound_ctrl:1
	ds_bpermute_b32 v5, v1, v2
	s_waitcnt lgkmcnt(0)
	v_cndmask_b32_e64 v5, 0, v5, s[2:3]
	v_add_u32_e32 v2, v2, v5
	ds_bpermute_b32 v5, v3, v2
	s_waitcnt lgkmcnt(0)
	v_cndmask_b32_e64 v5, 0, v5, s[4:5]
	v_add_u32_e32 v2, v2, v5
	s_and_saveexec_b64 s[8:9], s[6:7]
	s_cbranch_execz .LBB23_39
; %bb.41:                               ;   in Loop: Header=BB23_40 Depth=1
	ds_write_b32 v4, v2
	s_branch .LBB23_39
.LBB23_42:
	v_add_u32_e32 v1, s20, v12
	v_subrev_u32_e32 v1, 63, v1
	v_cmp_eq_u32_e32 vcc, s25, v1
	s_and_saveexec_b64 s[2:3], vcc
	s_cbranch_execz .LBB23_44
; %bb.43:
	v_mov_b32_e32 v1, 0
	v_mov_b32_e32 v3, s24
	global_store_dwordx2 v1, v[2:3], s[18:19]
.LBB23_44:
	s_or_b64 exec, exec, s[2:3]
.LBB23_45:
	s_cmp_eq_u64 s[22:23], 0
	s_barrier
	s_cbranch_scc1 .LBB23_55
; %bb.46:
	s_mul_i32 s18, s40, s24
	v_cmp_gt_i32_e32 vcc, s18, v0
	s_and_saveexec_b64 s[4:5], vcc
	s_cbranch_execz .LBB23_54
; %bb.47:
	v_xad_u32 v1, v0, -1, s18
	s_movk_i32 s2, 0xff
	v_cmp_lt_u32_e32 vcc, s2, v1
	s_mov_b64 s[2:3], -1
	v_mov_b32_e32 v2, v0
	s_and_saveexec_b64 s[6:7], vcc
	s_cbranch_execz .LBB23_51
; %bb.48:
	v_lshrrev_b32_e32 v1, 8, v1
	v_add_u32_e32 v6, 1, v1
	v_and_b32_e32 v7, 0x1fffffe, v6
	v_add_u32_e32 v1, 0x100, v0
	s_mov_b64 s[8:9], 0
	v_mov_b32_e32 v13, s29
	v_mov_b32_e32 v14, s23
	;; [unrolled: 1-line block ×4, first 2 shown]
	v_pk_mov_b32 v[4:5], v[0:1], v[0:1] op_sel:[0,1]
.LBB23_49:                              ; =>This Inner Loop Header: Depth=1
	v_mov_b32_e32 v2, v4
	v_lshlrev_b64 v[16:17], 2, v[2:3]
	v_mov_b32_e32 v2, v5
	v_add_co_u32_e32 v18, vcc, s28, v16
	v_addc_co_u32_e32 v19, vcc, v13, v17, vcc
	v_lshlrev_b64 v[20:21], 2, v[2:3]
	v_add_co_u32_e32 v22, vcc, s28, v20
	v_addc_co_u32_e32 v23, vcc, v13, v21, vcc
	global_load_dword v1, v[18:19], off
	global_load_dword v2, v[22:23], off
	v_add_u32_e32 v15, -2, v15
	v_cmp_eq_u32_e32 vcc, 0, v15
	v_add_co_u32_e64 v16, s[2:3], s22, v16
	v_add_u32_e32 v4, 0x200, v4
	v_add_u32_e32 v5, 0x200, v5
	v_addc_co_u32_e64 v17, s[2:3], v14, v17, s[2:3]
	s_or_b64 s[8:9], vcc, s[8:9]
	v_add_co_u32_e32 v18, vcc, s22, v20
	v_addc_co_u32_e32 v19, vcc, v14, v21, vcc
	s_waitcnt vmcnt(1)
	global_store_dword v[16:17], v1, off
	s_waitcnt vmcnt(1)
	global_store_dword v[18:19], v2, off
	s_andn2_b64 exec, exec, s[8:9]
	s_cbranch_execnz .LBB23_49
; %bb.50:
	s_or_b64 exec, exec, s[8:9]
	v_cmp_ne_u32_e32 vcc, v6, v7
	v_lshl_add_u32 v2, v7, 8, v0
	s_orn2_b64 s[2:3], vcc, exec
.LBB23_51:
	s_or_b64 exec, exec, s[6:7]
	s_and_b64 exec, exec, s[2:3]
	s_cbranch_execz .LBB23_54
; %bb.52:
	v_mov_b32_e32 v3, 0
	v_lshlrev_b64 v[6:7], 2, v[2:3]
	v_mov_b32_e32 v1, s29
	v_add_co_u32_e32 v4, vcc, s28, v6
	v_addc_co_u32_e32 v5, vcc, v1, v7, vcc
	v_mov_b32_e32 v1, s23
	v_add_co_u32_e32 v6, vcc, s22, v6
	v_addc_co_u32_e32 v7, vcc, v1, v7, vcc
	s_mov_b64 s[2:3], 0
.LBB23_53:                              ; =>This Inner Loop Header: Depth=1
	global_load_dword v1, v[4:5], off
	v_add_co_u32_e32 v4, vcc, 0x400, v4
	v_add_u32_e32 v2, 0x100, v2
	v_addc_co_u32_e32 v5, vcc, 0, v5, vcc
	v_cmp_le_i32_e32 vcc, s18, v2
	s_or_b64 s[2:3], vcc, s[2:3]
	s_waitcnt vmcnt(0)
	global_store_dword v[6:7], v1, off
	v_add_co_u32_e32 v6, vcc, 0x400, v6
	v_addc_co_u32_e32 v7, vcc, 0, v7, vcc
	s_andn2_b64 exec, exec, s[2:3]
	s_cbranch_execnz .LBB23_53
.LBB23_54:
	s_or_b64 exec, exec, s[4:5]
	s_barrier
.LBB23_55:
	s_lshl_b32 s20, s25, 2
	s_add_i32 s21, s20, 0
	s_add_i32 s22, s21, 4
	v_cmp_gt_i32_e64 s[2:3], s25, v0
	s_and_saveexec_b64 s[4:5], s[2:3]
	s_cbranch_execz .LBB23_61
; %bb.56:
	s_mov_b64 s[6:7], 0
	v_mov_b32_e32 v3, 0
	v_mov_b32_e32 v1, v0
	s_branch .LBB23_58
.LBB23_57:                              ;   in Loop: Header=BB23_58 Depth=1
	s_or_b64 exec, exec, s[8:9]
	v_add_u32_e32 v1, 0x100, v1
	v_cmp_le_i32_e32 vcc, s25, v1
	s_or_b64 s[6:7], vcc, s[6:7]
	s_andn2_b64 exec, exec, s[6:7]
	s_cbranch_execz .LBB23_61
.LBB23_58:                              ; =>This Loop Header: Depth=1
                                        ;     Child Loop BB23_60 Depth 2
	v_lshlrev_b32_e32 v2, 2, v1
	v_add_u32_e32 v4, 0, v2
	ds_read2_b32 v[4:5], v4 offset1:1
	v_add_u32_e32 v2, s22, v2
	s_waitcnt lgkmcnt(0)
	v_cmp_lt_i32_e32 vcc, v4, v5
	ds_write_b32 v2, v4
	s_and_saveexec_b64 s[8:9], vcc
	s_cbranch_execz .LBB23_57
; %bb.59:                               ;   in Loop: Header=BB23_58 Depth=1
	s_mov_b64 s[18:19], 0
.LBB23_60:                              ;   Parent Loop BB23_58 Depth=1
                                        ; =>  This Inner Loop Header: Depth=2
	v_mul_hi_u32 v2, s38, v4
	v_add_u32_e32 v2, v4, v2
	v_add_u32_e32 v4, s37, v4
	v_lshrrev_b32_e32 v2, s39, v2
	v_cmp_ge_i32_e32 vcc, v4, v5
	v_lshlrev_b64 v[6:7], 2, v[2:3]
	v_mov_b32_e32 v13, s17
	s_or_b64 s[18:19], vcc, s[18:19]
	v_add_co_u32_e32 v6, vcc, s16, v6
	v_addc_co_u32_e32 v7, vcc, v13, v7, vcc
	global_store_dword v[6:7], v1, off
	s_andn2_b64 exec, exec, s[18:19]
	s_cbranch_execnz .LBB23_60
	s_branch .LBB23_57
.LBB23_61:
	s_or_b64 exec, exec, s[4:5]
	v_mov_b32_e32 v1, s21
	s_waitcnt lgkmcnt(0)
	s_barrier
	ds_read_b32 v1, v1
	s_add_i32 s4, s21, s20
	v_mov_b32_e32 v2, s4
	s_andn2_b64 vcc, exec, s[10:11]
	s_waitcnt lgkmcnt(0)
	ds_write_b32 v2, v1 offset:4
	s_cbranch_vccnz .LBB23_73
; %bb.62:
	s_add_u32 s26, s12, -4
	s_addc_u32 s27, s13, -1
	s_add_u32 s28, s30, -4
	s_addc_u32 s29, s31, -1
	;; [unrolled: 2-line block ×3, first 2 shown]
	s_lshl_b32 s6, s25, 3
	v_and_b32_e32 v1, 8, v12
	v_add3_u32 v3, v10, s6, v11
	s_lshl_b32 s36, s25, 5
	v_cmp_gt_i32_e32 vcc, s33, v9
	s_mov_b32 s23, 0
	v_cmp_eq_u32_e64 s[4:5], 0, v1
	v_lshl_or_b32 v1, v0, 2, 28
	v_mul_lo_u32 v2, s40, v9
	s_lshl_b32 s35, s40, 3
	v_add3_u32 v3, v3, 0, 8
	s_add_i32 s36, s36, 32
	s_mov_b32 s37, 0x4020100
	s_branch .LBB23_64
.LBB23_63:                              ;   in Loop: Header=BB23_64 Depth=1
	s_or_b64 exec, exec, s[10:11]
	s_add_i32 s23, s23, s33
	s_cmp_ge_i32 s23, s24
	v_add_u32_e32 v2, s34, v2
	s_waitcnt lgkmcnt(0)
	s_barrier
	s_cbranch_scc1 .LBB23_73
.LBB23_64:                              ; =>This Loop Header: Depth=1
                                        ;     Child Loop BB23_68 Depth 2
                                        ;       Child Loop BB23_71 Depth 3
	s_and_saveexec_b64 s[10:11], s[0:1]
	s_cbranch_execz .LBB23_63
; %bb.65:                               ;   in Loop: Header=BB23_64 Depth=1
	s_mov_b64 s[16:17], 0
	v_mov_b32_e32 v4, v3
	v_mov_b32_e32 v5, v8
	s_branch .LBB23_68
.LBB23_66:                              ;   in Loop: Header=BB23_68 Depth=2
	s_or_b64 exec, exec, s[20:21]
.LBB23_67:                              ;   in Loop: Header=BB23_68 Depth=2
	s_or_b64 exec, exec, s[18:19]
	v_add_u32_e32 v5, 32, v5
	v_cmp_le_i32_e64 s[6:7], s25, v5
	s_or_b64 s[16:17], s[6:7], s[16:17]
	v_add_u32_e32 v4, 0x80, v4
	s_waitcnt lgkmcnt(0)
	ds_write_b32 v6, v7
	s_andn2_b64 exec, exec, s[16:17]
	s_cbranch_execz .LBB23_63
.LBB23_68:                              ;   Parent Loop BB23_64 Depth=1
                                        ; =>  This Loop Header: Depth=2
                                        ;       Child Loop BB23_71 Depth 3
	v_lshl_add_u32 v6, v5, 2, 0
	ds_read_b32 v7, v6
	s_and_saveexec_b64 s[18:19], vcc
	s_cbranch_execz .LBB23_67
; %bb.69:                               ;   in Loop: Header=BB23_68 Depth=2
	s_mov_b64 s[20:21], 0
	v_mov_b32_e32 v10, v4
	v_mov_b32_e32 v11, v2
	;; [unrolled: 1-line block ×3, first 2 shown]
	s_branch .LBB23_71
.LBB23_70:                              ;   in Loop: Header=BB23_71 Depth=3
	s_or_b64 exec, exec, s[8:9]
	ds_bpermute_b32 v13, v1, v13
	v_add_u32_e32 v12, 8, v12
	v_cmp_le_i32_e64 s[6:7], s33, v12
	v_add_u32_e32 v11, s35, v11
	s_or_b64 s[20:21], s[6:7], s[20:21]
	s_waitcnt lgkmcnt(0)
	v_add_u32_e32 v7, v13, v7
	v_add_u32_e32 v10, s36, v10
	s_andn2_b64 exec, exec, s[20:21]
	s_cbranch_execz .LBB23_66
.LBB23_71:                              ;   Parent Loop BB23_64 Depth=1
                                        ;     Parent Loop BB23_68 Depth=2
                                        ; =>    This Inner Loop Header: Depth=3
	ds_read_b32 v14, v10
	s_waitcnt lgkmcnt(0)
	v_cmp_ne_u32_e64 s[6:7], 0, v14
	v_cndmask_b32_e64 v13, 0, 1, s[6:7]
	s_nop 1
	v_mov_b32_dpp v13, v13 row_shr:1 row_mask:0xf bank_mask:0xf bound_ctrl:1
	v_addc_co_u32_e64 v15, s[8:9], 0, v13, s[6:7]
	s_nop 1
	v_mov_b32_dpp v15, v15 row_shr:2 row_mask:0xf bank_mask:0xf bound_ctrl:1
	v_addc_co_u32_e64 v13, s[8:9], v15, v13, s[6:7]
	s_nop 1
	v_add_u32_dpp v13, v13, v13 row_shr:4 row_mask:0xf bank_mask:0xf bound_ctrl:1
	s_nop 1
	v_add_u32_dpp v13, v13, v13 row_shr:8 row_mask:0xf bank_mask:0xf bound_ctrl:1
	s_nop 1
	v_mov_b32_dpp v15, v13 row_newbcast:7 row_mask:0xf bank_mask:0xf bound_ctrl:1
	v_cndmask_b32_e64 v15, v15, 0, s[4:5]
	v_sub_u32_e32 v13, v13, v15
	s_and_saveexec_b64 s[8:9], s[6:7]
	s_cbranch_execz .LBB23_70
; %bb.72:                               ;   in Loop: Header=BB23_71 Depth=3
	v_add_u32_e32 v16, v11, v14
	v_ashrrev_i32_e32 v17, 31, v16
	v_lshlrev_b64 v[16:17], 2, v[16:17]
	v_mov_b32_e32 v15, s29
	v_add_co_u32_e64 v16, s[6:7], s28, v16
	v_addc_co_u32_e64 v17, s[6:7], v15, v17, s[6:7]
	global_load_dword v18, v[16:17], off
	v_add_u32_e32 v15, s23, v12
	v_perm_b32 v14, v14, v15, s37
	v_add_u32_e32 v19, 0xff000000, v14
	v_add_u32_e32 v14, v13, v7
	v_ashrrev_i32_e32 v15, 31, v14
	v_lshlrev_b64 v[14:15], 2, v[14:15]
	v_mov_b32_e32 v17, s27
	v_add_co_u32_e64 v16, s[6:7], s26, v14
	v_addc_co_u32_e64 v17, s[6:7], v17, v15, s[6:7]
	global_store_dword v[16:17], v19, off
	v_mov_b32_e32 v16, s31
	v_add_co_u32_e64 v14, s[6:7], s30, v14
	v_addc_co_u32_e64 v15, s[6:7], v16, v15, s[6:7]
	s_waitcnt vmcnt(1)
	global_store_dword v[14:15], v18, off
	s_branch .LBB23_70
.LBB23_73:
	s_and_saveexec_b64 s[0:1], s[2:3]
	s_cbranch_execz .LBB23_84
; %bb.74:
	s_and_b32 s0, s24, 0xffffff
	s_lshl_b32 s1, s40, 24
	s_or_b32 s4, s1, s0
	s_mov_b32 s5, s4
	s_add_i32 s22, s22, 4
	s_mov_b64 s[2:3], 0
	s_mov_b32 s8, 0
	v_mov_b32_e32 v1, 0
	s_branch .LBB23_76
.LBB23_75:                              ;   in Loop: Header=BB23_76 Depth=1
	s_or_b64 exec, exec, s[16:17]
	v_add_u32_e32 v0, 0x100, v0
	v_cmp_le_i32_e32 vcc, s25, v0
	s_or_b64 s[2:3], vcc, s[2:3]
	s_andn2_b64 exec, exec, s[2:3]
	s_cbranch_execz .LBB23_84
.LBB23_76:                              ; =>This Loop Header: Depth=1
                                        ;     Child Loop BB23_79 Depth 2
                                        ;     Child Loop BB23_83 Depth 2
	v_lshlrev_b32_e32 v2, 2, v0
	v_add_u32_e32 v3, 0, v2
	v_add_u32_e32 v4, s22, v2
	ds_read_b32 v2, v3
	ds_read_b32 v8, v4
	s_waitcnt lgkmcnt(0)
	v_cmp_gt_i32_e32 vcc, v8, v2
	s_and_saveexec_b64 s[16:17], vcc
	s_cbranch_execz .LBB23_75
; %bb.77:                               ;   in Loop: Header=BB23_76 Depth=1
	v_sub_u32_e32 v3, v8, v2
	v_cmp_lt_u32_e32 vcc, 15, v3
	s_mov_b64 s[6:7], -1
	s_and_saveexec_b64 s[0:1], vcc
	s_cbranch_execz .LBB23_81
; %bb.78:                               ;   in Loop: Header=BB23_76 Depth=1
	v_and_b32_e32 v6, -16, v3
	s_mov_b64 s[18:19], 0
	v_mov_b32_e32 v4, v2
	v_mov_b32_e32 v7, v6
.LBB23_79:                              ;   Parent Loop BB23_76 Depth=1
                                        ; =>  This Inner Loop Header: Depth=2
	v_ashrrev_i32_e32 v5, 31, v4
	v_lshlrev_b64 v[14:15], 2, v[4:5]
	v_mov_b32_e32 v5, s13
	v_add_co_u32_e32 v16, vcc, s12, v14
	v_addc_co_u32_e32 v17, vcc, v5, v15, vcc
	s_mov_b32 s6, s4
	s_mov_b32 s7, s5
	v_pk_mov_b32 v[12:13], s[6:7], s[6:7] op_sel:[0,1]
	v_mov_b32_e32 v5, s15
	v_add_co_u32_e32 v14, vcc, s14, v14
	v_pk_mov_b32 v[10:11], s[4:5], s[4:5] op_sel:[0,1]
	v_addc_co_u32_e32 v15, vcc, v5, v15, vcc
	s_mov_b32 s10, s8
	s_mov_b32 s11, s8
	v_add_u32_e32 v7, -16, v7
	global_store_dwordx4 v[16:17], v[10:13], off
	global_store_dwordx4 v[16:17], v[10:13], off offset:16
	global_store_dwordx4 v[16:17], v[10:13], off offset:32
	;; [unrolled: 1-line block ×3, first 2 shown]
	s_mov_b32 s9, s8
	v_pk_mov_b32 v[12:13], s[10:11], s[10:11] op_sel:[0,1]
	v_cmp_eq_u32_e32 vcc, 0, v7
	v_pk_mov_b32 v[10:11], s[8:9], s[8:9] op_sel:[0,1]
	s_or_b64 s[18:19], vcc, s[18:19]
	v_add_u32_e32 v4, 16, v4
	global_store_dwordx4 v[14:15], v[10:13], off
	global_store_dwordx4 v[14:15], v[10:13], off offset:16
	global_store_dwordx4 v[14:15], v[10:13], off offset:32
	;; [unrolled: 1-line block ×3, first 2 shown]
	s_andn2_b64 exec, exec, s[18:19]
	s_cbranch_execnz .LBB23_79
; %bb.80:                               ;   in Loop: Header=BB23_76 Depth=1
	s_or_b64 exec, exec, s[18:19]
	v_cmp_ne_u32_e32 vcc, v3, v6
	v_add_u32_e32 v2, v2, v6
	s_orn2_b64 s[6:7], vcc, exec
.LBB23_81:                              ;   in Loop: Header=BB23_76 Depth=1
	s_or_b64 exec, exec, s[0:1]
	s_and_b64 exec, exec, s[6:7]
	s_cbranch_execz .LBB23_75
; %bb.82:                               ;   in Loop: Header=BB23_76 Depth=1
	v_ashrrev_i32_e32 v3, 31, v2
	v_lshlrev_b64 v[6:7], 2, v[2:3]
	v_mov_b32_e32 v3, s13
	v_add_co_u32_e32 v4, vcc, s12, v6
	v_addc_co_u32_e32 v5, vcc, v3, v7, vcc
	v_mov_b32_e32 v3, s15
	v_add_co_u32_e32 v6, vcc, s14, v6
	v_addc_co_u32_e32 v7, vcc, v3, v7, vcc
	s_mov_b64 s[6:7], 0
.LBB23_83:                              ;   Parent Loop BB23_76 Depth=1
                                        ; =>  This Inner Loop Header: Depth=2
	global_store_dword v[6:7], v1, off
	v_add_co_u32_e32 v6, vcc, 4, v6
	v_mov_b32_e32 v3, s4
	v_add_u32_e32 v2, 1, v2
	v_addc_co_u32_e32 v7, vcc, 0, v7, vcc
	global_store_dword v[4:5], v3, off
	v_cmp_ge_i32_e32 vcc, v2, v8
	v_add_co_u32_e64 v4, s[0:1], 4, v4
	s_or_b64 s[6:7], vcc, s[6:7]
	v_addc_co_u32_e64 v5, vcc, 0, v5, s[0:1]
	s_andn2_b64 exec, exec, s[6:7]
	s_cbranch_execnz .LBB23_83
	s_branch .LBB23_75
.LBB23_84:
	s_endpgm
	.section	.rodata,"a",@progbits
	.p2align	6, 0x0
	.amdhsa_kernel _ZN5aiter22opus_moe_sorting_entryINS_16MoeSortingKernelINS_19MoeSortingProblemExIifLi2ELb1ELb0ELb0ELb1ELi0EEEEENS4_5KargsEEEvT0_
		.amdhsa_group_segment_fixed_size 0
		.amdhsa_private_segment_fixed_size 0
		.amdhsa_kernarg_size 400
		.amdhsa_user_sgpr_count 6
		.amdhsa_user_sgpr_private_segment_buffer 1
		.amdhsa_user_sgpr_dispatch_ptr 0
		.amdhsa_user_sgpr_queue_ptr 0
		.amdhsa_user_sgpr_kernarg_segment_ptr 1
		.amdhsa_user_sgpr_dispatch_id 0
		.amdhsa_user_sgpr_flat_scratch_init 0
		.amdhsa_user_sgpr_kernarg_preload_length 0
		.amdhsa_user_sgpr_kernarg_preload_offset 0
		.amdhsa_user_sgpr_private_segment_size 0
		.amdhsa_uses_dynamic_stack 0
		.amdhsa_system_sgpr_private_segment_wavefront_offset 0
		.amdhsa_system_sgpr_workgroup_id_x 1
		.amdhsa_system_sgpr_workgroup_id_y 0
		.amdhsa_system_sgpr_workgroup_id_z 0
		.amdhsa_system_sgpr_workgroup_info 0
		.amdhsa_system_vgpr_workitem_id 0
		.amdhsa_next_free_vgpr 24
		.amdhsa_next_free_sgpr 44
		.amdhsa_accum_offset 24
		.amdhsa_reserve_vcc 1
		.amdhsa_reserve_flat_scratch 0
		.amdhsa_float_round_mode_32 0
		.amdhsa_float_round_mode_16_64 0
		.amdhsa_float_denorm_mode_32 3
		.amdhsa_float_denorm_mode_16_64 3
		.amdhsa_dx10_clamp 1
		.amdhsa_ieee_mode 1
		.amdhsa_fp16_overflow 0
		.amdhsa_tg_split 0
		.amdhsa_exception_fp_ieee_invalid_op 0
		.amdhsa_exception_fp_denorm_src 0
		.amdhsa_exception_fp_ieee_div_zero 0
		.amdhsa_exception_fp_ieee_overflow 0
		.amdhsa_exception_fp_ieee_underflow 0
		.amdhsa_exception_fp_ieee_inexact 0
		.amdhsa_exception_int_div_zero 0
	.end_amdhsa_kernel
	.section	.text._ZN5aiter22opus_moe_sorting_entryINS_16MoeSortingKernelINS_19MoeSortingProblemExIifLi2ELb1ELb0ELb0ELb1ELi0EEEEENS4_5KargsEEEvT0_,"axG",@progbits,_ZN5aiter22opus_moe_sorting_entryINS_16MoeSortingKernelINS_19MoeSortingProblemExIifLi2ELb1ELb0ELb0ELb1ELi0EEEEENS4_5KargsEEEvT0_,comdat
.Lfunc_end23:
	.size	_ZN5aiter22opus_moe_sorting_entryINS_16MoeSortingKernelINS_19MoeSortingProblemExIifLi2ELb1ELb0ELb0ELb1ELi0EEEEENS4_5KargsEEEvT0_, .Lfunc_end23-_ZN5aiter22opus_moe_sorting_entryINS_16MoeSortingKernelINS_19MoeSortingProblemExIifLi2ELb1ELb0ELb0ELb1ELi0EEEEENS4_5KargsEEEvT0_
                                        ; -- End function
	.section	.AMDGPU.csdata,"",@progbits
; Kernel info:
; codeLenInByte = 3604
; NumSgprs: 48
; NumVgprs: 24
; NumAgprs: 0
; TotalNumVgprs: 24
; ScratchSize: 0
; MemoryBound: 0
; FloatMode: 240
; IeeeMode: 1
; LDSByteSize: 0 bytes/workgroup (compile time only)
; SGPRBlocks: 5
; VGPRBlocks: 2
; NumSGPRsForWavesPerEU: 48
; NumVGPRsForWavesPerEU: 24
; AccumOffset: 24
; Occupancy: 8
; WaveLimiterHint : 1
; COMPUTE_PGM_RSRC2:SCRATCH_EN: 0
; COMPUTE_PGM_RSRC2:USER_SGPR: 6
; COMPUTE_PGM_RSRC2:TRAP_HANDLER: 0
; COMPUTE_PGM_RSRC2:TGID_X_EN: 1
; COMPUTE_PGM_RSRC2:TGID_Y_EN: 0
; COMPUTE_PGM_RSRC2:TGID_Z_EN: 0
; COMPUTE_PGM_RSRC2:TIDIG_COMP_CNT: 0
; COMPUTE_PGM_RSRC3_GFX90A:ACCUM_OFFSET: 5
; COMPUTE_PGM_RSRC3_GFX90A:TG_SPLIT: 0
	.section	.text._ZN5aiter22opus_moe_sorting_entryINS_16MoeSortingKernelINS_19MoeSortingProblemExIifLi1ELb1ELb0ELb0ELb1ELi0EEEEENS4_5KargsEEEvT0_,"axG",@progbits,_ZN5aiter22opus_moe_sorting_entryINS_16MoeSortingKernelINS_19MoeSortingProblemExIifLi1ELb1ELb0ELb0ELb1ELi0EEEEENS4_5KargsEEEvT0_,comdat
	.protected	_ZN5aiter22opus_moe_sorting_entryINS_16MoeSortingKernelINS_19MoeSortingProblemExIifLi1ELb1ELb0ELb0ELb1ELi0EEEEENS4_5KargsEEEvT0_ ; -- Begin function _ZN5aiter22opus_moe_sorting_entryINS_16MoeSortingKernelINS_19MoeSortingProblemExIifLi1ELb1ELb0ELb0ELb1ELi0EEEEENS4_5KargsEEEvT0_
	.globl	_ZN5aiter22opus_moe_sorting_entryINS_16MoeSortingKernelINS_19MoeSortingProblemExIifLi1ELb1ELb0ELb0ELb1ELi0EEEEENS4_5KargsEEEvT0_
	.p2align	8
	.type	_ZN5aiter22opus_moe_sorting_entryINS_16MoeSortingKernelINS_19MoeSortingProblemExIifLi1ELb1ELb0ELb0ELb1ELi0EEEEENS4_5KargsEEEvT0_,@function
_ZN5aiter22opus_moe_sorting_entryINS_16MoeSortingKernelINS_19MoeSortingProblemExIifLi1ELb1ELb0ELb0ELb1ELi0EEEEENS4_5KargsEEEvT0_: ; @_ZN5aiter22opus_moe_sorting_entryINS_16MoeSortingKernelINS_19MoeSortingProblemExIifLi1ELb1ELb0ELb0ELb1ELi0EEEEENS4_5KargsEEEvT0_
; %bb.0:
	s_load_dwordx8 s[12:19], s[4:5], 0x20
	s_load_dwordx8 s[20:27], s[4:5], 0x40
	s_cmp_eq_u32 s6, 0
	s_cbranch_scc1 .LBB24_7
; %bb.1:
	s_waitcnt lgkmcnt(0)
	s_cmp_eq_u64 s[20:21], 0
	s_mov_b64 s[2:3], 0
	s_cbranch_scc1 .LBB24_6
; %bb.2:
	s_mul_i32 s1, s26, s24
	s_ashr_i32 s7, s27, 31
	s_mul_hi_i32 s0, s26, s24
	s_mul_i32 s7, s1, s7
	s_mul_hi_u32 s8, s1, s27
	s_add_i32 s7, s8, s7
	s_mul_i32 s0, s0, s27
	s_add_i32 s8, s7, s0
	s_ashr_i32 s0, s8, 31
	s_mul_i32 s1, s1, s27
	s_lshr_b32 s0, s0, 28
	s_add_u32 s0, s1, s0
	s_addc_u32 s1, s8, 0
	v_lshl_add_u32 v1, s6, 8, v0
	s_ashr_i64 s[8:9], s[0:1], 4
	v_add_u32_e32 v2, 0xffffff00, v1
	v_mov_b32_e32 v3, 0
	s_mov_b32 s7, 0
	v_cmp_gt_i64_e32 vcc, s[8:9], v[2:3]
	s_and_saveexec_b64 s[10:11], vcc
	s_cbranch_execz .LBB24_5
; %bb.3:
	s_load_dword s0, s[4:5], 0x90
	v_lshlrev_b64 v[4:5], 4, v[2:3]
	v_mov_b32_e32 v1, s21
	v_add_co_u32_e32 v8, vcc, s20, v4
	s_waitcnt lgkmcnt(0)
	s_lshl_b32 s0, s0, 8
	s_add_i32 s6, s0, 0xffffff00
	s_lshl_b64 s[20:21], s[6:7], 4
	v_pk_mov_b32 v[6:7], v[2:3], v[2:3] op_sel:[0,1]
	v_addc_co_u32_e32 v9, vcc, v1, v5, vcc
	s_mov_b64 s[26:27], 0
	v_mov_b32_e32 v2, v3
	v_mov_b32_e32 v4, v3
	;; [unrolled: 1-line block ×5, first 2 shown]
.LBB24_4:                               ; =>This Inner Loop Header: Depth=1
	v_add_co_u32_e32 v6, vcc, s6, v6
	v_addc_co_u32_e32 v7, vcc, v7, v1, vcc
	global_store_dwordx4 v[8:9], v[2:5], off
	v_add_co_u32_e32 v8, vcc, s20, v8
	v_cmp_le_i64_e64 s[0:1], s[8:9], v[6:7]
	s_or_b64 s[26:27], s[0:1], s[26:27]
	v_addc_co_u32_e32 v9, vcc, v9, v10, vcc
	s_andn2_b64 exec, exec, s[26:27]
	s_cbranch_execnz .LBB24_4
.LBB24_5:
	s_or_b64 exec, exec, s[10:11]
.LBB24_6:
	s_andn2_b64 vcc, exec, s[2:3]
	s_cbranch_vccz .LBB24_8
	s_branch .LBB24_84
.LBB24_7:
.LBB24_8:
	s_load_dwordx8 s[36:43], s[4:5], 0x64
	s_load_dwordx4 s[8:11], s[4:5], 0x0
	s_load_dwordx2 s[0:1], s[4:5], 0x84
	v_lshrrev_b32_e32 v1, 6, v0
	v_readfirstlane_b32 s33, v1
	s_waitcnt lgkmcnt(0)
	s_add_i32 s30, s36, -2
	s_mul_i32 s26, s30, s25
	s_add_i32 s34, s25, 1
	v_cmp_gt_i32_e32 vcc, s26, v0
	s_and_saveexec_b64 s[2:3], vcc
	s_cbranch_execz .LBB24_18
; %bb.9:
	v_xad_u32 v2, v0, -1, s26
	s_movk_i32 s6, 0xff
	s_mov_b32 s5, 0
	s_mov_b32 s4, s0
	s_sub_i32 s0, s34, s43
	v_cmp_lt_u32_e32 vcc, s6, v2
	s_mov_b64 s[20:21], 0
                                        ; implicit-def: $vgpr1
                                        ; implicit-def: $sgpr27
	s_and_saveexec_b64 s[6:7], vcc
	s_xor_b64 s[6:7], exec, s[6:7]
	s_cbranch_execnz .LBB24_12
; %bb.10:
	s_or_saveexec_b64 s[6:7], s[6:7]
	v_mov_b32_e32 v2, s27
	s_xor_b64 exec, exec, s[6:7]
	s_cbranch_execnz .LBB24_15
.LBB24_11:
	s_or_b64 exec, exec, s[6:7]
	s_and_b64 exec, exec, s[20:21]
	s_cbranch_execnz .LBB24_16
	s_branch .LBB24_18
.LBB24_12:
	v_lshrrev_b32_e32 v1, 8, v2
	v_add_u32_e32 v4, 1, v1
	s_lshl_b32 s27, s25, 3
	v_and_b32_e32 v5, 0x1fffffe, v4
	v_add_u32_e32 v1, 0x100, v0
	s_add_i32 s20, s27, 0
	s_mov_b32 s28, s4
	s_mov_b32 s29, s1
	;; [unrolled: 1-line block ×3, first 2 shown]
	v_lshl_add_u32 v6, v0, 2, s20
	s_mov_b64 s[20:21], 0
	v_mov_b32_e32 v7, 0
	v_mov_b32_e32 v8, v5
	v_pk_mov_b32 v[2:3], v[0:1], v[0:1] op_sel:[0,1]
.LBB24_13:                              ; =>This Inner Loop Header: Depth=1
	v_mul_hi_u32 v1, s4, v2
	v_mul_hi_u32 v9, s28, v3
	v_add_u32_e32 v9, v3, v9
	v_add_u32_e32 v1, v2, v1
	v_add_u32_e32 v8, -2, v8
	v_lshrrev_b32_e32 v1, s29, v1
	v_lshrrev_b32_e32 v9, s1, v9
	v_cmp_eq_u32_e32 vcc, 0, v8
	v_mul_lo_u32 v9, v9, s31
	v_mul_lo_u32 v1, v1, s0
	v_add_u32_e32 v3, 0x200, v3
	v_add_u32_e32 v2, 0x200, v2
	s_or_b64 s[20:21], vcc, s[20:21]
	v_lshl_add_u32 v1, v1, 2, v6
	v_lshl_add_u32 v9, v9, 2, v6
	v_add_u32_e32 v6, 0x800, v6
	ds_write_b32 v1, v7 offset:8
	ds_write_b32 v9, v7 offset:1032
	s_andn2_b64 exec, exec, s[20:21]
	s_cbranch_execnz .LBB24_13
; %bb.14:
	s_or_b64 exec, exec, s[20:21]
	v_cmp_ne_u32_e32 vcc, v4, v5
	v_lshl_add_u32 v1, v5, 8, v0
	s_and_b64 s[20:21], vcc, exec
	s_or_saveexec_b64 s[6:7], s[6:7]
	v_mov_b32_e32 v2, s27
	s_xor_b64 exec, exec, s[6:7]
	s_cbranch_execz .LBB24_11
.LBB24_15:
	s_lshl_b32 s27, s25, 3
	v_mov_b32_e32 v2, s27
	s_or_b64 s[20:21], s[20:21], exec
	v_mov_b32_e32 v1, v0
	s_or_b64 exec, exec, s[6:7]
	s_and_b64 exec, exec, s[20:21]
	s_cbranch_execz .LBB24_18
.LBB24_16:
	v_lshl_add_u32 v2, v1, 2, v2
	v_mad_u64_u32 v[4:5], s[6:7], v1, s4, 0
	s_lshl_b64 s[4:5], s[4:5], 8
	s_lshl_b32 s0, s0, 2
	v_add3_u32 v2, v2, 0, 8
	s_mov_b64 s[6:7], 0
	v_mov_b32_e32 v3, 0
	v_mov_b32_e32 v6, s5
.LBB24_17:                              ; =>This Inner Loop Header: Depth=1
	v_add_co_u32_e32 v4, vcc, s4, v4
	v_add_u32_e32 v7, v1, v5
	v_add_u32_e32 v1, 0x100, v1
	v_addc_co_u32_e32 v5, vcc, v5, v6, vcc
	v_lshrrev_b32_e32 v7, s1, v7
	v_cmp_le_i32_e32 vcc, s26, v1
	v_mad_u64_u32 v[8:9], s[20:21], s0, v7, v[2:3]
	v_add_u32_e32 v2, 0x400, v2
	s_or_b64 s[6:7], vcc, s[6:7]
	ds_write_b32 v8, v3
	s_andn2_b64 exec, exec, s[6:7]
	s_cbranch_execnz .LBB24_17
.LBB24_18:
	s_or_b64 exec, exec, s[2:3]
	s_cmp_gt_i32 s24, 0
	s_mov_b32 s3, 0
	s_cselect_b64 s[20:21], -1, 0
	s_cmp_lt_i32 s24, 1
	s_mul_i32 s31, s40, s30
	s_waitcnt lgkmcnt(0)
	s_barrier
	s_cbranch_scc1 .LBB24_26
; %bb.19:
	s_lshl_b32 s0, s34, 3
	s_mov_b32 s2, s41
	s_add_i32 s35, s0, 0
	v_cmp_gt_i32_e32 vcc, s31, v0
	s_sub_i32 s43, 0, s40
	v_mad_u64_u32 v[2:3], s[0:1], v0, s41, 0
	s_lshl_b64 s[4:5], s[2:3], 8
	v_mov_b32_e32 v5, 0
	s_mov_b32 s2, 0
	s_branch .LBB24_21
.LBB24_20:                              ;   in Loop: Header=BB24_21 Depth=1
	s_or_b64 exec, exec, s[6:7]
	s_add_i32 s2, s2, s30
	s_add_i32 s3, s3, s31
	s_cmp_ge_i32 s2, s24
	s_barrier
	s_cbranch_scc1 .LBB24_26
.LBB24_21:                              ; =>This Loop Header: Depth=1
                                        ;     Child Loop BB24_24 Depth 2
	s_and_saveexec_b64 s[6:7], vcc
	s_cbranch_execz .LBB24_20
; %bb.22:                               ;   in Loop: Header=BB24_21 Depth=1
	s_mov_b64 s[26:27], 0
	v_pk_mov_b32 v[6:7], v[2:3], v[2:3] op_sel:[0,1]
	v_mov_b32_e32 v1, v0
	s_branch .LBB24_24
.LBB24_23:                              ;   in Loop: Header=BB24_24 Depth=2
	s_or_b64 exec, exec, s[28:29]
	v_add_u32_e32 v1, 0x100, v1
	v_cmp_le_i32_e64 s[0:1], s31, v1
	v_mov_b32_e32 v4, s5
	s_or_b64 s[26:27], s[0:1], s[26:27]
	v_add_co_u32_e64 v6, s[0:1], s4, v6
	v_addc_co_u32_e64 v7, s[0:1], v7, v4, s[0:1]
	s_waitcnt lgkmcnt(0)
	s_andn2_b64 exec, exec, s[26:27]
	s_cbranch_execz .LBB24_20
.LBB24_24:                              ;   Parent Loop BB24_21 Depth=1
                                        ; =>  This Inner Loop Header: Depth=2
	v_add_u32_e32 v4, v1, v7
	v_lshrrev_b32_e32 v8, s42, v4
	v_add_u32_e32 v4, s2, v8
	v_cmp_gt_i32_e64 s[0:1], s24, v4
	s_and_saveexec_b64 s[28:29], s[0:1]
	s_cbranch_execz .LBB24_23
; %bb.25:                               ;   in Loop: Header=BB24_24 Depth=2
	v_add_u32_e32 v4, s3, v1
	v_lshlrev_b64 v[10:11], 2, v[4:5]
	v_mov_b32_e32 v4, s9
	v_add_co_u32_e64 v10, s[0:1], s8, v10
	v_addc_co_u32_e64 v11, s[0:1], v4, v11, s[0:1]
	global_load_dword v4, v[10:11], off
	v_mul_lo_u32 v9, s43, v8
	v_mul_lo_u32 v8, v8, s34
	v_lshlrev_b32_e32 v8, 2, v8
	v_add3_u32 v9, v1, v9, 1
	s_waitcnt vmcnt(0)
	v_lshlrev_b32_e32 v4, 2, v4
	v_add3_u32 v4, s35, v4, v8
	ds_write_b32 v4, v9
	s_branch .LBB24_23
.LBB24_26:
	v_cmp_eq_u32_e32 vcc, 0, v0
	s_and_saveexec_b64 s[0:1], vcc
	s_cbranch_execz .LBB24_28
; %bb.27:
	v_mov_b32_e32 v1, 0
	ds_write_b32 v1, v1
.LBB24_28:
	s_or_b64 exec, exec, s[0:1]
	v_mbcnt_lo_u32_b32 v1, -1, 0
	v_and_b32_e32 v9, 7, v0
	v_mbcnt_hi_u32_b32 v12, -1, v1
	v_lshrrev_b32_e32 v8, 3, v0
	v_mul_lo_u32 v1, s34, v9
	v_cmp_gt_i32_e64 s[0:1], s25, v8
	v_lshlrev_b32_e32 v10, 2, v1
	v_lshlrev_b32_e32 v11, 2, v8
	s_and_saveexec_b64 s[26:27], s[0:1]
	s_cbranch_execz .LBB24_36
; %bb.29:
	s_cmp_gt_i32 s36, 2
	s_cselect_b64 s[4:5], -1, 0
	s_lshl_b32 s6, s25, 3
	v_lshlrev_b32_e32 v3, 2, v12
	v_add3_u32 v4, v10, s6, v11
	s_lshl_b32 s34, s25, 5
	v_cndmask_b32_e64 v5, 0, 1, s[4:5]
	v_xor_b32_e32 v1, 4, v3
	v_xor_b32_e32 v2, 8, v3
	;; [unrolled: 1-line block ×3, first 2 shown]
	v_cmp_eq_u32_e64 s[2:3], 0, v9
	v_add3_u32 v4, v4, 0, 8
	s_add_i32 s34, s34, 32
	s_mov_b64 s[28:29], 0
	v_cmp_ne_u32_e64 s[4:5], 1, v5
	v_mov_b32_e32 v5, v8
	s_branch .LBB24_31
.LBB24_30:                              ;   in Loop: Header=BB24_31 Depth=1
	s_or_b64 exec, exec, s[6:7]
	v_add_u32_e32 v5, 32, v5
	v_cmp_le_i32_e32 vcc, s25, v5
	s_or_b64 s[28:29], vcc, s[28:29]
	v_add_u32_e32 v4, 0x80, v4
	s_andn2_b64 exec, exec, s[28:29]
	s_cbranch_execz .LBB24_36
.LBB24_31:                              ; =>This Loop Header: Depth=1
                                        ;     Child Loop BB24_33 Depth 2
	s_and_b64 vcc, exec, s[4:5]
	v_mov_b32_e32 v6, 0
	s_cbranch_vccnz .LBB24_34
; %bb.32:                               ;   in Loop: Header=BB24_31 Depth=1
	s_mov_b32 s35, 0
	v_mov_b32_e32 v6, 0
	v_mov_b32_e32 v7, v4
.LBB24_33:                              ;   Parent Loop BB24_31 Depth=1
                                        ; =>  This Inner Loop Header: Depth=2
	ds_read_b32 v13, v7
	s_add_i32 s35, s35, 8
	v_add_u32_e32 v7, s34, v7
	s_cmp_ge_i32 s35, s30
	s_waitcnt lgkmcnt(0)
	v_cmp_ne_u32_e32 vcc, 0, v13
	v_cndmask_b32_e64 v13, 0, 1, vcc
	ds_bpermute_b32 v13, v1, v13
	s_waitcnt lgkmcnt(0)
	v_addc_co_u32_e64 v14, s[6:7], 0, v13, vcc
	ds_bpermute_b32 v14, v2, v14
	s_waitcnt lgkmcnt(0)
	v_addc_co_u32_e32 v13, vcc, v14, v13, vcc
	ds_bpermute_b32 v14, v3, v13
	s_waitcnt lgkmcnt(0)
	v_add3_u32 v6, v14, v6, v13
	s_cbranch_scc0 .LBB24_33
.LBB24_34:                              ;   in Loop: Header=BB24_31 Depth=1
	s_and_saveexec_b64 s[6:7], s[2:3]
	s_cbranch_execz .LBB24_30
; %bb.35:                               ;   in Loop: Header=BB24_31 Depth=1
	v_lshl_add_u32 v7, v5, 2, 0
	ds_write_b32 v7, v6 offset:4
	s_branch .LBB24_30
.LBB24_36:
	s_or_b64 exec, exec, s[26:27]
	s_cmp_lg_u32 s33, 0
	s_mov_b32 s28, 0
	s_waitcnt lgkmcnt(0)
	s_barrier
	s_cbranch_scc1 .LBB24_45
; %bb.37:
	s_cmp_lt_i32 s25, 1
	v_mov_b32_e32 v2, 0
	s_cbranch_scc1 .LBB24_42
; %bb.38:
	v_lshlrev_b32_e32 v2, 2, v12
	v_and_b32_e32 v3, 0xc0, v2
	v_cmp_eq_u32_e32 vcc, 0, v12
	s_add_i32 s29, s37, -1
	v_add_u32_e32 v1, -4, v3
	v_cmp_lt_u32_e64 s[2:3], 15, v12
	v_add_u32_e32 v3, 0xffffffbc, v3
	v_cmp_lt_u32_e64 s[4:5], 31, v12
	v_add3_u32 v4, v2, 0, 4
	s_branch .LBB24_40
.LBB24_39:                              ;   in Loop: Header=BB24_40 Depth=1
	s_or_b64 exec, exec, s[26:27]
	s_add_i32 s28, s28, 64
	s_cmp_lt_i32 s28, s25
	v_add_u32_e32 v4, 0x100, v4
	s_waitcnt lgkmcnt(0)
	s_cbranch_scc0 .LBB24_42
.LBB24_40:                              ; =>This Inner Loop Header: Depth=1
	ds_read_b32 v5, v4
	v_mov_b32_e32 v2, s28
	v_cndmask_b32_e32 v2, 0, v2, vcc
	v_lshl_add_u32 v2, v2, 2, 0
	ds_read_b32 v2, v2
	s_waitcnt lgkmcnt(1)
	v_add_u32_e32 v5, s29, v5
	v_mul_hi_u32 v6, v5, s38
	v_add_u32_e32 v5, v5, v6
	v_lshrrev_b32_e32 v5, s39, v5
	s_waitcnt lgkmcnt(0)
	v_mad_u64_u32 v[6:7], s[6:7], v5, s37, v[2:3]
	s_nop 1
	v_add_u32_dpp v2, v6, v6 row_shr:1 row_mask:0xf bank_mask:0xf bound_ctrl:1
	v_add_u32_e32 v6, s28, v12
	v_cmp_gt_i32_e64 s[6:7], s25, v6
	v_add_u32_dpp v2, v2, v2 row_shr:2 row_mask:0xf bank_mask:0xf bound_ctrl:1
	s_nop 1
	v_add_u32_dpp v2, v2, v2 row_shr:4 row_mask:0xf bank_mask:0xf bound_ctrl:1
	s_nop 1
	v_add_u32_dpp v2, v2, v2 row_shr:8 row_mask:0xf bank_mask:0xf bound_ctrl:1
	ds_bpermute_b32 v5, v1, v2
	s_waitcnt lgkmcnt(0)
	v_cndmask_b32_e64 v5, 0, v5, s[2:3]
	v_add_u32_e32 v2, v2, v5
	ds_bpermute_b32 v5, v3, v2
	s_waitcnt lgkmcnt(0)
	v_cndmask_b32_e64 v5, 0, v5, s[4:5]
	v_add_u32_e32 v2, v2, v5
	s_and_saveexec_b64 s[26:27], s[6:7]
	s_cbranch_execz .LBB24_39
; %bb.41:                               ;   in Loop: Header=BB24_40 Depth=1
	ds_write_b32 v4, v2
	s_branch .LBB24_39
.LBB24_42:
	v_add_u32_e32 v1, s28, v12
	v_subrev_u32_e32 v1, 63, v1
	v_cmp_eq_u32_e32 vcc, s25, v1
	s_and_saveexec_b64 s[2:3], vcc
	s_cbranch_execz .LBB24_44
; %bb.43:
	v_mov_b32_e32 v1, 0
	v_mov_b32_e32 v3, s24
	global_store_dwordx2 v1, v[2:3], s[18:19]
.LBB24_44:
	s_or_b64 exec, exec, s[2:3]
.LBB24_45:
	s_cmp_eq_u64 s[22:23], 0
	s_barrier
	s_cbranch_scc1 .LBB24_55
; %bb.46:
	s_mul_i32 s26, s40, s24
	v_cmp_gt_i32_e32 vcc, s26, v0
	s_and_saveexec_b64 s[4:5], vcc
	s_cbranch_execz .LBB24_54
; %bb.47:
	v_xad_u32 v1, v0, -1, s26
	s_movk_i32 s2, 0xff
	v_cmp_lt_u32_e32 vcc, s2, v1
	s_mov_b64 s[2:3], -1
	v_mov_b32_e32 v2, v0
	s_and_saveexec_b64 s[6:7], vcc
	s_cbranch_execz .LBB24_51
; %bb.48:
	v_lshrrev_b32_e32 v1, 8, v1
	v_add_u32_e32 v6, 1, v1
	v_and_b32_e32 v7, 0x1fffffe, v6
	v_add_u32_e32 v1, 0x100, v0
	s_mov_b64 s[18:19], 0
	v_mov_b32_e32 v13, s9
	v_mov_b32_e32 v14, s23
	v_mov_b32_e32 v3, 0
	v_mov_b32_e32 v15, v7
	v_pk_mov_b32 v[4:5], v[0:1], v[0:1] op_sel:[0,1]
.LBB24_49:                              ; =>This Inner Loop Header: Depth=1
	v_mov_b32_e32 v2, v4
	v_lshlrev_b64 v[16:17], 2, v[2:3]
	v_mov_b32_e32 v2, v5
	v_add_co_u32_e32 v18, vcc, s8, v16
	v_addc_co_u32_e32 v19, vcc, v13, v17, vcc
	v_lshlrev_b64 v[20:21], 2, v[2:3]
	v_add_co_u32_e32 v22, vcc, s8, v20
	v_addc_co_u32_e32 v23, vcc, v13, v21, vcc
	global_load_dword v1, v[18:19], off
	global_load_dword v2, v[22:23], off
	v_add_u32_e32 v15, -2, v15
	v_cmp_eq_u32_e32 vcc, 0, v15
	v_add_co_u32_e64 v16, s[2:3], s22, v16
	v_add_u32_e32 v4, 0x200, v4
	v_add_u32_e32 v5, 0x200, v5
	v_addc_co_u32_e64 v17, s[2:3], v14, v17, s[2:3]
	s_or_b64 s[18:19], vcc, s[18:19]
	v_add_co_u32_e32 v18, vcc, s22, v20
	v_addc_co_u32_e32 v19, vcc, v14, v21, vcc
	s_waitcnt vmcnt(1)
	global_store_dword v[16:17], v1, off
	s_waitcnt vmcnt(1)
	global_store_dword v[18:19], v2, off
	s_andn2_b64 exec, exec, s[18:19]
	s_cbranch_execnz .LBB24_49
; %bb.50:
	s_or_b64 exec, exec, s[18:19]
	v_cmp_ne_u32_e32 vcc, v6, v7
	v_lshl_add_u32 v2, v7, 8, v0
	s_orn2_b64 s[2:3], vcc, exec
.LBB24_51:
	s_or_b64 exec, exec, s[6:7]
	s_and_b64 exec, exec, s[2:3]
	s_cbranch_execz .LBB24_54
; %bb.52:
	v_mov_b32_e32 v3, 0
	v_lshlrev_b64 v[6:7], 2, v[2:3]
	v_mov_b32_e32 v1, s9
	v_add_co_u32_e32 v4, vcc, s8, v6
	v_addc_co_u32_e32 v5, vcc, v1, v7, vcc
	v_mov_b32_e32 v1, s23
	v_add_co_u32_e32 v6, vcc, s22, v6
	v_addc_co_u32_e32 v7, vcc, v1, v7, vcc
	s_mov_b64 s[2:3], 0
.LBB24_53:                              ; =>This Inner Loop Header: Depth=1
	global_load_dword v1, v[4:5], off
	v_add_co_u32_e32 v4, vcc, 0x400, v4
	v_add_u32_e32 v2, 0x100, v2
	v_addc_co_u32_e32 v5, vcc, 0, v5, vcc
	v_cmp_le_i32_e32 vcc, s26, v2
	s_or_b64 s[2:3], vcc, s[2:3]
	s_waitcnt vmcnt(0)
	global_store_dword v[6:7], v1, off
	v_add_co_u32_e32 v6, vcc, 0x400, v6
	v_addc_co_u32_e32 v7, vcc, 0, v7, vcc
	s_andn2_b64 exec, exec, s[2:3]
	s_cbranch_execnz .LBB24_53
.LBB24_54:
	s_or_b64 exec, exec, s[4:5]
	s_barrier
.LBB24_55:
	s_lshl_b32 s23, s25, 2
	s_add_i32 s26, s23, 0
	s_add_i32 s22, s26, 4
	v_cmp_gt_i32_e64 s[2:3], s25, v0
	s_and_saveexec_b64 s[4:5], s[2:3]
	s_cbranch_execz .LBB24_61
; %bb.56:
	s_mov_b64 s[6:7], 0
	v_mov_b32_e32 v3, 0
	v_mov_b32_e32 v1, v0
	s_branch .LBB24_58
.LBB24_57:                              ;   in Loop: Header=BB24_58 Depth=1
	s_or_b64 exec, exec, s[8:9]
	v_add_u32_e32 v1, 0x100, v1
	v_cmp_le_i32_e32 vcc, s25, v1
	s_or_b64 s[6:7], vcc, s[6:7]
	s_andn2_b64 exec, exec, s[6:7]
	s_cbranch_execz .LBB24_61
.LBB24_58:                              ; =>This Loop Header: Depth=1
                                        ;     Child Loop BB24_60 Depth 2
	v_lshlrev_b32_e32 v2, 2, v1
	v_add_u32_e32 v4, 0, v2
	ds_read2_b32 v[4:5], v4 offset1:1
	v_add_u32_e32 v2, s22, v2
	s_waitcnt lgkmcnt(0)
	v_cmp_lt_i32_e32 vcc, v4, v5
	ds_write_b32 v2, v4
	s_and_saveexec_b64 s[8:9], vcc
	s_cbranch_execz .LBB24_57
; %bb.59:                               ;   in Loop: Header=BB24_58 Depth=1
	s_mov_b64 s[18:19], 0
.LBB24_60:                              ;   Parent Loop BB24_58 Depth=1
                                        ; =>  This Inner Loop Header: Depth=2
	v_mul_hi_u32 v2, s38, v4
	v_add_u32_e32 v2, v4, v2
	v_add_u32_e32 v4, s37, v4
	v_lshrrev_b32_e32 v2, s39, v2
	v_cmp_ge_i32_e32 vcc, v4, v5
	v_lshlrev_b64 v[6:7], 2, v[2:3]
	v_mov_b32_e32 v13, s17
	s_or_b64 s[18:19], vcc, s[18:19]
	v_add_co_u32_e32 v6, vcc, s16, v6
	v_addc_co_u32_e32 v7, vcc, v13, v7, vcc
	global_store_dword v[6:7], v1, off
	s_andn2_b64 exec, exec, s[18:19]
	s_cbranch_execnz .LBB24_60
	s_branch .LBB24_57
.LBB24_61:
	s_or_b64 exec, exec, s[4:5]
	v_mov_b32_e32 v1, s26
	s_waitcnt lgkmcnt(0)
	s_barrier
	ds_read_b32 v1, v1
	s_add_i32 s4, s26, s23
	v_mov_b32_e32 v2, s4
	s_andn2_b64 vcc, exec, s[20:21]
	s_waitcnt lgkmcnt(0)
	ds_write_b32 v2, v1 offset:4
	s_cbranch_vccnz .LBB24_73
; %bb.62:
	s_add_u32 s26, s12, -4
	s_addc_u32 s27, s13, -1
	s_add_u32 s28, s10, -4
	s_addc_u32 s29, s11, -1
	;; [unrolled: 2-line block ×3, first 2 shown]
	s_lshl_b32 s6, s25, 3
	v_and_b32_e32 v1, 8, v12
	v_add3_u32 v3, v10, s6, v11
	s_lshl_b32 s36, s25, 5
	v_cmp_gt_i32_e32 vcc, s30, v9
	s_mov_b32 s23, 0
	v_cmp_eq_u32_e64 s[4:5], 0, v1
	v_lshl_or_b32 v1, v0, 2, 28
	v_mul_lo_u32 v2, s40, v9
	s_lshl_b32 s35, s40, 3
	v_add3_u32 v3, v3, 0, 8
	s_add_i32 s36, s36, 32
	s_mov_b32 s37, 0x4020100
	s_branch .LBB24_64
.LBB24_63:                              ;   in Loop: Header=BB24_64 Depth=1
	s_or_b64 exec, exec, s[10:11]
	s_add_i32 s23, s23, s30
	s_cmp_ge_i32 s23, s24
	v_add_u32_e32 v2, s31, v2
	s_waitcnt lgkmcnt(0)
	s_barrier
	s_cbranch_scc1 .LBB24_73
.LBB24_64:                              ; =>This Loop Header: Depth=1
                                        ;     Child Loop BB24_68 Depth 2
                                        ;       Child Loop BB24_71 Depth 3
	s_and_saveexec_b64 s[10:11], s[0:1]
	s_cbranch_execz .LBB24_63
; %bb.65:                               ;   in Loop: Header=BB24_64 Depth=1
	s_mov_b64 s[16:17], 0
	v_mov_b32_e32 v4, v3
	v_mov_b32_e32 v5, v8
	s_branch .LBB24_68
.LBB24_66:                              ;   in Loop: Header=BB24_68 Depth=2
	s_or_b64 exec, exec, s[20:21]
.LBB24_67:                              ;   in Loop: Header=BB24_68 Depth=2
	s_or_b64 exec, exec, s[18:19]
	v_add_u32_e32 v5, 32, v5
	v_cmp_le_i32_e64 s[6:7], s25, v5
	s_or_b64 s[16:17], s[6:7], s[16:17]
	v_add_u32_e32 v4, 0x80, v4
	s_waitcnt lgkmcnt(0)
	ds_write_b32 v6, v7
	s_andn2_b64 exec, exec, s[16:17]
	s_cbranch_execz .LBB24_63
.LBB24_68:                              ;   Parent Loop BB24_64 Depth=1
                                        ; =>  This Loop Header: Depth=2
                                        ;       Child Loop BB24_71 Depth 3
	v_lshl_add_u32 v6, v5, 2, 0
	ds_read_b32 v7, v6
	s_and_saveexec_b64 s[18:19], vcc
	s_cbranch_execz .LBB24_67
; %bb.69:                               ;   in Loop: Header=BB24_68 Depth=2
	s_mov_b64 s[20:21], 0
	v_mov_b32_e32 v10, v4
	v_mov_b32_e32 v11, v2
	;; [unrolled: 1-line block ×3, first 2 shown]
	s_branch .LBB24_71
.LBB24_70:                              ;   in Loop: Header=BB24_71 Depth=3
	s_or_b64 exec, exec, s[8:9]
	ds_bpermute_b32 v13, v1, v13
	v_add_u32_e32 v12, 8, v12
	v_cmp_le_i32_e64 s[6:7], s30, v12
	v_add_u32_e32 v11, s35, v11
	s_or_b64 s[20:21], s[6:7], s[20:21]
	s_waitcnt lgkmcnt(0)
	v_add_u32_e32 v7, v13, v7
	v_add_u32_e32 v10, s36, v10
	s_andn2_b64 exec, exec, s[20:21]
	s_cbranch_execz .LBB24_66
.LBB24_71:                              ;   Parent Loop BB24_64 Depth=1
                                        ;     Parent Loop BB24_68 Depth=2
                                        ; =>    This Inner Loop Header: Depth=3
	ds_read_b32 v14, v10
	s_waitcnt lgkmcnt(0)
	v_cmp_ne_u32_e64 s[6:7], 0, v14
	v_cndmask_b32_e64 v13, 0, 1, s[6:7]
	s_nop 1
	v_mov_b32_dpp v13, v13 row_shr:1 row_mask:0xf bank_mask:0xf bound_ctrl:1
	v_addc_co_u32_e64 v15, s[8:9], 0, v13, s[6:7]
	s_nop 1
	v_mov_b32_dpp v15, v15 row_shr:2 row_mask:0xf bank_mask:0xf bound_ctrl:1
	v_addc_co_u32_e64 v13, s[8:9], v15, v13, s[6:7]
	s_nop 1
	v_add_u32_dpp v13, v13, v13 row_shr:4 row_mask:0xf bank_mask:0xf bound_ctrl:1
	s_nop 1
	v_add_u32_dpp v13, v13, v13 row_shr:8 row_mask:0xf bank_mask:0xf bound_ctrl:1
	s_nop 1
	v_mov_b32_dpp v15, v13 row_newbcast:7 row_mask:0xf bank_mask:0xf bound_ctrl:1
	v_cndmask_b32_e64 v15, v15, 0, s[4:5]
	v_sub_u32_e32 v13, v13, v15
	s_and_saveexec_b64 s[8:9], s[6:7]
	s_cbranch_execz .LBB24_70
; %bb.72:                               ;   in Loop: Header=BB24_71 Depth=3
	v_add_u32_e32 v16, v11, v14
	v_ashrrev_i32_e32 v17, 31, v16
	v_lshlrev_b64 v[16:17], 2, v[16:17]
	v_mov_b32_e32 v15, s29
	v_add_co_u32_e64 v16, s[6:7], s28, v16
	v_addc_co_u32_e64 v17, s[6:7], v15, v17, s[6:7]
	global_load_dword v18, v[16:17], off
	v_add_u32_e32 v15, s23, v12
	v_perm_b32 v14, v14, v15, s37
	v_add_u32_e32 v19, 0xff000000, v14
	v_add_u32_e32 v14, v13, v7
	v_ashrrev_i32_e32 v15, 31, v14
	v_lshlrev_b64 v[14:15], 2, v[14:15]
	v_mov_b32_e32 v17, s27
	v_add_co_u32_e64 v16, s[6:7], s26, v14
	v_addc_co_u32_e64 v17, s[6:7], v17, v15, s[6:7]
	global_store_dword v[16:17], v19, off
	v_mov_b32_e32 v16, s34
	v_add_co_u32_e64 v14, s[6:7], s33, v14
	v_addc_co_u32_e64 v15, s[6:7], v16, v15, s[6:7]
	s_waitcnt vmcnt(1)
	global_store_dword v[14:15], v18, off
	s_branch .LBB24_70
.LBB24_73:
	s_and_saveexec_b64 s[0:1], s[2:3]
	s_cbranch_execz .LBB24_84
; %bb.74:
	s_and_b32 s0, s24, 0xffffff
	s_lshl_b32 s1, s40, 24
	s_or_b32 s4, s1, s0
	s_mov_b32 s5, s4
	s_add_i32 s22, s22, 4
	s_mov_b64 s[2:3], 0
	s_mov_b32 s8, 0
	v_mov_b32_e32 v1, 0
	s_branch .LBB24_76
.LBB24_75:                              ;   in Loop: Header=BB24_76 Depth=1
	s_or_b64 exec, exec, s[16:17]
	v_add_u32_e32 v0, 0x100, v0
	v_cmp_le_i32_e32 vcc, s25, v0
	s_or_b64 s[2:3], vcc, s[2:3]
	s_andn2_b64 exec, exec, s[2:3]
	s_cbranch_execz .LBB24_84
.LBB24_76:                              ; =>This Loop Header: Depth=1
                                        ;     Child Loop BB24_79 Depth 2
                                        ;     Child Loop BB24_83 Depth 2
	v_lshlrev_b32_e32 v2, 2, v0
	v_add_u32_e32 v3, 0, v2
	v_add_u32_e32 v4, s22, v2
	ds_read_b32 v2, v3
	ds_read_b32 v8, v4
	s_waitcnt lgkmcnt(0)
	v_cmp_gt_i32_e32 vcc, v8, v2
	s_and_saveexec_b64 s[16:17], vcc
	s_cbranch_execz .LBB24_75
; %bb.77:                               ;   in Loop: Header=BB24_76 Depth=1
	v_sub_u32_e32 v3, v8, v2
	v_cmp_lt_u32_e32 vcc, 15, v3
	s_mov_b64 s[6:7], -1
	s_and_saveexec_b64 s[0:1], vcc
	s_cbranch_execz .LBB24_81
; %bb.78:                               ;   in Loop: Header=BB24_76 Depth=1
	v_and_b32_e32 v6, -16, v3
	s_mov_b64 s[18:19], 0
	v_mov_b32_e32 v4, v2
	v_mov_b32_e32 v7, v6
.LBB24_79:                              ;   Parent Loop BB24_76 Depth=1
                                        ; =>  This Inner Loop Header: Depth=2
	v_ashrrev_i32_e32 v5, 31, v4
	v_lshlrev_b64 v[14:15], 2, v[4:5]
	v_mov_b32_e32 v5, s13
	v_add_co_u32_e32 v16, vcc, s12, v14
	v_addc_co_u32_e32 v17, vcc, v5, v15, vcc
	s_mov_b32 s6, s4
	s_mov_b32 s7, s5
	v_pk_mov_b32 v[12:13], s[6:7], s[6:7] op_sel:[0,1]
	v_mov_b32_e32 v5, s15
	v_add_co_u32_e32 v14, vcc, s14, v14
	v_pk_mov_b32 v[10:11], s[4:5], s[4:5] op_sel:[0,1]
	v_addc_co_u32_e32 v15, vcc, v5, v15, vcc
	s_mov_b32 s10, s8
	s_mov_b32 s11, s8
	v_add_u32_e32 v7, -16, v7
	global_store_dwordx4 v[16:17], v[10:13], off
	global_store_dwordx4 v[16:17], v[10:13], off offset:16
	global_store_dwordx4 v[16:17], v[10:13], off offset:32
	;; [unrolled: 1-line block ×3, first 2 shown]
	s_mov_b32 s9, s8
	v_pk_mov_b32 v[12:13], s[10:11], s[10:11] op_sel:[0,1]
	v_cmp_eq_u32_e32 vcc, 0, v7
	v_pk_mov_b32 v[10:11], s[8:9], s[8:9] op_sel:[0,1]
	s_or_b64 s[18:19], vcc, s[18:19]
	v_add_u32_e32 v4, 16, v4
	global_store_dwordx4 v[14:15], v[10:13], off
	global_store_dwordx4 v[14:15], v[10:13], off offset:16
	global_store_dwordx4 v[14:15], v[10:13], off offset:32
	;; [unrolled: 1-line block ×3, first 2 shown]
	s_andn2_b64 exec, exec, s[18:19]
	s_cbranch_execnz .LBB24_79
; %bb.80:                               ;   in Loop: Header=BB24_76 Depth=1
	s_or_b64 exec, exec, s[18:19]
	v_cmp_ne_u32_e32 vcc, v3, v6
	v_add_u32_e32 v2, v2, v6
	s_orn2_b64 s[6:7], vcc, exec
.LBB24_81:                              ;   in Loop: Header=BB24_76 Depth=1
	s_or_b64 exec, exec, s[0:1]
	s_and_b64 exec, exec, s[6:7]
	s_cbranch_execz .LBB24_75
; %bb.82:                               ;   in Loop: Header=BB24_76 Depth=1
	v_ashrrev_i32_e32 v3, 31, v2
	v_lshlrev_b64 v[6:7], 2, v[2:3]
	v_mov_b32_e32 v3, s13
	v_add_co_u32_e32 v4, vcc, s12, v6
	v_addc_co_u32_e32 v5, vcc, v3, v7, vcc
	v_mov_b32_e32 v3, s15
	v_add_co_u32_e32 v6, vcc, s14, v6
	v_addc_co_u32_e32 v7, vcc, v3, v7, vcc
	s_mov_b64 s[6:7], 0
.LBB24_83:                              ;   Parent Loop BB24_76 Depth=1
                                        ; =>  This Inner Loop Header: Depth=2
	global_store_dword v[6:7], v1, off
	v_add_co_u32_e32 v6, vcc, 4, v6
	v_mov_b32_e32 v3, s4
	v_add_u32_e32 v2, 1, v2
	v_addc_co_u32_e32 v7, vcc, 0, v7, vcc
	global_store_dword v[4:5], v3, off
	v_cmp_ge_i32_e32 vcc, v2, v8
	v_add_co_u32_e64 v4, s[0:1], 4, v4
	s_or_b64 s[6:7], vcc, s[6:7]
	v_addc_co_u32_e64 v5, vcc, 0, v5, s[0:1]
	s_andn2_b64 exec, exec, s[6:7]
	s_cbranch_execnz .LBB24_83
	s_branch .LBB24_75
.LBB24_84:
	s_endpgm
	.section	.rodata,"a",@progbits
	.p2align	6, 0x0
	.amdhsa_kernel _ZN5aiter22opus_moe_sorting_entryINS_16MoeSortingKernelINS_19MoeSortingProblemExIifLi1ELb1ELb0ELb0ELb1ELi0EEEEENS4_5KargsEEEvT0_
		.amdhsa_group_segment_fixed_size 0
		.amdhsa_private_segment_fixed_size 0
		.amdhsa_kernarg_size 400
		.amdhsa_user_sgpr_count 6
		.amdhsa_user_sgpr_private_segment_buffer 1
		.amdhsa_user_sgpr_dispatch_ptr 0
		.amdhsa_user_sgpr_queue_ptr 0
		.amdhsa_user_sgpr_kernarg_segment_ptr 1
		.amdhsa_user_sgpr_dispatch_id 0
		.amdhsa_user_sgpr_flat_scratch_init 0
		.amdhsa_user_sgpr_kernarg_preload_length 0
		.amdhsa_user_sgpr_kernarg_preload_offset 0
		.amdhsa_user_sgpr_private_segment_size 0
		.amdhsa_uses_dynamic_stack 0
		.amdhsa_system_sgpr_private_segment_wavefront_offset 0
		.amdhsa_system_sgpr_workgroup_id_x 1
		.amdhsa_system_sgpr_workgroup_id_y 0
		.amdhsa_system_sgpr_workgroup_id_z 0
		.amdhsa_system_sgpr_workgroup_info 0
		.amdhsa_system_vgpr_workitem_id 0
		.amdhsa_next_free_vgpr 24
		.amdhsa_next_free_sgpr 44
		.amdhsa_accum_offset 24
		.amdhsa_reserve_vcc 1
		.amdhsa_reserve_flat_scratch 0
		.amdhsa_float_round_mode_32 0
		.amdhsa_float_round_mode_16_64 0
		.amdhsa_float_denorm_mode_32 3
		.amdhsa_float_denorm_mode_16_64 3
		.amdhsa_dx10_clamp 1
		.amdhsa_ieee_mode 1
		.amdhsa_fp16_overflow 0
		.amdhsa_tg_split 0
		.amdhsa_exception_fp_ieee_invalid_op 0
		.amdhsa_exception_fp_denorm_src 0
		.amdhsa_exception_fp_ieee_div_zero 0
		.amdhsa_exception_fp_ieee_overflow 0
		.amdhsa_exception_fp_ieee_underflow 0
		.amdhsa_exception_fp_ieee_inexact 0
		.amdhsa_exception_int_div_zero 0
	.end_amdhsa_kernel
	.section	.text._ZN5aiter22opus_moe_sorting_entryINS_16MoeSortingKernelINS_19MoeSortingProblemExIifLi1ELb1ELb0ELb0ELb1ELi0EEEEENS4_5KargsEEEvT0_,"axG",@progbits,_ZN5aiter22opus_moe_sorting_entryINS_16MoeSortingKernelINS_19MoeSortingProblemExIifLi1ELb1ELb0ELb0ELb1ELi0EEEEENS4_5KargsEEEvT0_,comdat
.Lfunc_end24:
	.size	_ZN5aiter22opus_moe_sorting_entryINS_16MoeSortingKernelINS_19MoeSortingProblemExIifLi1ELb1ELb0ELb0ELb1ELi0EEEEENS4_5KargsEEEvT0_, .Lfunc_end24-_ZN5aiter22opus_moe_sorting_entryINS_16MoeSortingKernelINS_19MoeSortingProblemExIifLi1ELb1ELb0ELb0ELb1ELi0EEEEENS4_5KargsEEEvT0_
                                        ; -- End function
	.section	.AMDGPU.csdata,"",@progbits
; Kernel info:
; codeLenInByte = 3480
; NumSgprs: 48
; NumVgprs: 24
; NumAgprs: 0
; TotalNumVgprs: 24
; ScratchSize: 0
; MemoryBound: 0
; FloatMode: 240
; IeeeMode: 1
; LDSByteSize: 0 bytes/workgroup (compile time only)
; SGPRBlocks: 5
; VGPRBlocks: 2
; NumSGPRsForWavesPerEU: 48
; NumVGPRsForWavesPerEU: 24
; AccumOffset: 24
; Occupancy: 8
; WaveLimiterHint : 1
; COMPUTE_PGM_RSRC2:SCRATCH_EN: 0
; COMPUTE_PGM_RSRC2:USER_SGPR: 6
; COMPUTE_PGM_RSRC2:TRAP_HANDLER: 0
; COMPUTE_PGM_RSRC2:TGID_X_EN: 1
; COMPUTE_PGM_RSRC2:TGID_Y_EN: 0
; COMPUTE_PGM_RSRC2:TGID_Z_EN: 0
; COMPUTE_PGM_RSRC2:TIDIG_COMP_CNT: 0
; COMPUTE_PGM_RSRC3_GFX90A:ACCUM_OFFSET: 5
; COMPUTE_PGM_RSRC3_GFX90A:TG_SPLIT: 0
	.section	.text._ZN5aiter22opus_moe_sorting_entryINS_16MoeSortingKernelINS_19MoeSortingProblemExIifLi8ELb0ELb0ELb1ELb1ELi0EEEEENS4_5KargsEEEvT0_,"axG",@progbits,_ZN5aiter22opus_moe_sorting_entryINS_16MoeSortingKernelINS_19MoeSortingProblemExIifLi8ELb0ELb0ELb1ELb1ELi0EEEEENS4_5KargsEEEvT0_,comdat
	.protected	_ZN5aiter22opus_moe_sorting_entryINS_16MoeSortingKernelINS_19MoeSortingProblemExIifLi8ELb0ELb0ELb1ELb1ELi0EEEEENS4_5KargsEEEvT0_ ; -- Begin function _ZN5aiter22opus_moe_sorting_entryINS_16MoeSortingKernelINS_19MoeSortingProblemExIifLi8ELb0ELb0ELb1ELb1ELi0EEEEENS4_5KargsEEEvT0_
	.globl	_ZN5aiter22opus_moe_sorting_entryINS_16MoeSortingKernelINS_19MoeSortingProblemExIifLi8ELb0ELb0ELb1ELb1ELi0EEEEENS4_5KargsEEEvT0_
	.p2align	8
	.type	_ZN5aiter22opus_moe_sorting_entryINS_16MoeSortingKernelINS_19MoeSortingProblemExIifLi8ELb0ELb0ELb1ELb1ELi0EEEEENS4_5KargsEEEvT0_,@function
_ZN5aiter22opus_moe_sorting_entryINS_16MoeSortingKernelINS_19MoeSortingProblemExIifLi8ELb0ELb0ELb1ELb1ELi0EEEEENS4_5KargsEEEvT0_: ; @_ZN5aiter22opus_moe_sorting_entryINS_16MoeSortingKernelINS_19MoeSortingProblemExIifLi8ELb0ELb0ELb1ELb1ELi0EEEEENS4_5KargsEEEvT0_
; %bb.0:
	s_load_dwordx8 s[16:23], s[4:5], 0x18
	s_load_dwordx4 s[12:15], s[4:5], 0x38
	s_load_dwordx2 s[10:11], s[4:5], 0x48
	s_load_dwordx4 s[36:39], s[4:5], 0x54
	s_cmp_eq_u32 s6, 0
	s_waitcnt lgkmcnt(0)
	s_load_dword s33, s[16:17], 0x0
	s_cbranch_scc1 .LBB25_7
; %bb.1:
	s_cmp_eq_u64 s[14:15], 0
	s_mov_b64 s[2:3], 0
	s_cbranch_scc1 .LBB25_6
; %bb.2:
	s_waitcnt lgkmcnt(0)
	s_ashr_i32 s0, s33, 31
	s_mul_i32 s7, s38, s37
	s_mul_hi_i32 s1, s38, s37
	s_mul_i32 s0, s7, s0
	s_mul_hi_u32 s8, s7, s33
	s_add_i32 s0, s8, s0
	s_mul_i32 s1, s1, s33
	s_add_i32 s1, s0, s1
	s_mul_i32 s0, s7, s33
	s_ashr_i32 s7, s1, 31
	s_lshr_b32 s8, s7, 28
	s_add_u32 s0, s0, s8
	s_addc_u32 s1, s1, 0
	v_lshl_add_u32 v1, s6, 8, v0
	s_ashr_i64 s[8:9], s[0:1], 4
	v_add_u32_e32 v2, 0xffffff00, v1
	v_mov_b32_e32 v3, 0
	s_mov_b32 s7, 0
	v_cmp_gt_i64_e32 vcc, s[8:9], v[2:3]
	s_and_saveexec_b64 s[16:17], vcc
	s_cbranch_execz .LBB25_5
; %bb.3:
	s_load_dword s0, s[4:5], 0x90
	v_lshlrev_b64 v[4:5], 4, v[2:3]
	v_mov_b32_e32 v1, s15
	v_add_co_u32_e32 v8, vcc, s14, v4
	s_waitcnt lgkmcnt(0)
	s_lshl_b32 s0, s0, 8
	s_add_i32 s6, s0, 0xffffff00
	s_lshl_b64 s[14:15], s[6:7], 4
	v_pk_mov_b32 v[6:7], v[2:3], v[2:3] op_sel:[0,1]
	v_addc_co_u32_e32 v9, vcc, v1, v5, vcc
	s_mov_b64 s[24:25], 0
	v_mov_b32_e32 v2, v3
	v_mov_b32_e32 v4, v3
	v_mov_b32_e32 v5, v3
	v_mov_b32_e32 v1, s7
	v_mov_b32_e32 v10, s15
.LBB25_4:                               ; =>This Inner Loop Header: Depth=1
	v_add_co_u32_e32 v6, vcc, s6, v6
	v_addc_co_u32_e32 v7, vcc, v7, v1, vcc
	global_store_dwordx4 v[8:9], v[2:5], off
	v_add_co_u32_e32 v8, vcc, s14, v8
	v_cmp_le_i64_e64 s[0:1], s[8:9], v[6:7]
	s_or_b64 s[24:25], s[0:1], s[24:25]
	v_addc_co_u32_e32 v9, vcc, v9, v10, vcc
	s_andn2_b64 exec, exec, s[24:25]
	s_cbranch_execnz .LBB25_4
.LBB25_5:
	s_or_b64 exec, exec, s[16:17]
.LBB25_6:
	s_andn2_b64 vcc, exec, s[2:3]
	s_cbranch_vccz .LBB25_8
	s_branch .LBB25_99
.LBB25_7:
.LBB25_8:
	s_load_dwordx8 s[24:31], s[4:5], 0x64
	s_load_dwordx4 s[40:43], s[4:5], 0x0
	s_load_dwordx2 s[34:35], s[4:5], 0x84
	v_lshrrev_b32_e32 v1, 6, v0
	v_readfirstlane_b32 s44, v1
	s_waitcnt lgkmcnt(0)
	s_add_i32 s37, s24, -2
	s_mul_i32 s49, s37, s36
	s_add_i32 s48, s36, 1
	v_cmp_gt_i32_e64 s[0:1], s49, v0
	v_xad_u32 v8, v0, -1, s49
	s_and_saveexec_b64 s[2:3], s[0:1]
	s_cbranch_execz .LBB25_18
; %bb.9:
	s_movk_i32 s6, 0xff
	s_mov_b32 s5, 0
	s_mov_b32 s4, s34
	s_sub_i32 s14, s48, s31
	v_cmp_lt_u32_e32 vcc, s6, v8
	s_mov_b64 s[8:9], 0
                                        ; implicit-def: $vgpr1
                                        ; implicit-def: $sgpr15
	s_and_saveexec_b64 s[6:7], vcc
	s_xor_b64 s[6:7], exec, s[6:7]
	s_cbranch_execnz .LBB25_12
; %bb.10:
	s_or_saveexec_b64 s[6:7], s[6:7]
	v_mov_b32_e32 v2, s15
	s_xor_b64 exec, exec, s[6:7]
	s_cbranch_execnz .LBB25_15
.LBB25_11:
	s_or_b64 exec, exec, s[6:7]
	s_and_b64 exec, exec, s[8:9]
	s_cbranch_execnz .LBB25_16
	s_branch .LBB25_18
.LBB25_12:
	v_lshrrev_b32_e32 v1, 8, v8
	v_add_u32_e32 v4, 1, v1
	s_lshl_b32 s15, s36, 3
	v_and_b32_e32 v5, 0x1fffffe, v4
	v_add_u32_e32 v1, 0x100, v0
	s_add_i32 s8, s15, 0
	s_mov_b32 s16, s4
	s_mov_b32 s17, s35
	;; [unrolled: 1-line block ×4, first 2 shown]
	v_lshl_add_u32 v6, v0, 2, s8
	s_mov_b64 s[8:9], 0
	v_mov_b32_e32 v7, 0
	v_mov_b32_e32 v9, v5
	v_pk_mov_b32 v[2:3], v[0:1], v[0:1] op_sel:[0,1]
.LBB25_13:                              ; =>This Inner Loop Header: Depth=1
	v_mul_hi_u32 v1, s4, v2
	v_mul_hi_u32 v10, s16, v3
	v_add_u32_e32 v10, v3, v10
	v_add_u32_e32 v1, v2, v1
	v_add_u32_e32 v9, -2, v9
	v_lshrrev_b32_e32 v1, s17, v1
	v_lshrrev_b32_e32 v10, s38, v10
	v_cmp_eq_u32_e32 vcc, 0, v9
	v_mul_lo_u32 v10, v10, s39
	v_mul_lo_u32 v1, v1, s14
	v_add_u32_e32 v3, 0x200, v3
	v_add_u32_e32 v2, 0x200, v2
	s_or_b64 s[8:9], vcc, s[8:9]
	v_lshl_add_u32 v1, v1, 2, v6
	v_lshl_add_u32 v10, v10, 2, v6
	v_add_u32_e32 v6, 0x800, v6
	ds_write_b32 v1, v7 offset:8
	ds_write_b32 v10, v7 offset:1032
	s_andn2_b64 exec, exec, s[8:9]
	s_cbranch_execnz .LBB25_13
; %bb.14:
	s_or_b64 exec, exec, s[8:9]
	v_cmp_ne_u32_e32 vcc, v4, v5
	v_lshl_add_u32 v1, v5, 8, v0
	s_and_b64 s[8:9], vcc, exec
	s_or_saveexec_b64 s[6:7], s[6:7]
	v_mov_b32_e32 v2, s15
	s_xor_b64 exec, exec, s[6:7]
	s_cbranch_execz .LBB25_11
.LBB25_15:
	s_lshl_b32 s15, s36, 3
	v_mov_b32_e32 v2, s15
	s_or_b64 s[8:9], s[8:9], exec
	v_mov_b32_e32 v1, v0
	s_or_b64 exec, exec, s[6:7]
	s_and_b64 exec, exec, s[8:9]
	s_cbranch_execz .LBB25_18
.LBB25_16:
	v_lshl_add_u32 v2, v1, 2, v2
	v_mad_u64_u32 v[4:5], s[6:7], v1, s4, 0
	s_lshl_b64 s[4:5], s[4:5], 8
	s_lshl_b32 s8, s14, 2
	v_add3_u32 v2, v2, 0, 8
	s_mov_b64 s[6:7], 0
	v_mov_b32_e32 v3, 0
	v_mov_b32_e32 v6, s5
.LBB25_17:                              ; =>This Inner Loop Header: Depth=1
	v_add_co_u32_e32 v4, vcc, s4, v4
	v_add_u32_e32 v7, v1, v5
	v_add_u32_e32 v1, 0x100, v1
	v_addc_co_u32_e32 v5, vcc, v5, v6, vcc
	v_lshrrev_b32_e32 v7, s35, v7
	v_cmp_le_i32_e32 vcc, s49, v1
	v_mad_u64_u32 v[10:11], s[14:15], s8, v7, v[2:3]
	v_add_u32_e32 v2, 0x400, v2
	s_or_b64 s[6:7], vcc, s[6:7]
	ds_write_b32 v10, v3
	s_andn2_b64 exec, exec, s[6:7]
	s_cbranch_execnz .LBB25_17
.LBB25_18:
	s_or_b64 exec, exec, s[2:3]
	s_lshl_b32 s2, s48, 3
	s_add_i32 s50, s2, 0
	s_cmp_gt_i32 s33, 0
	s_mul_i32 s51, s28, s37
	s_mov_b32 s5, 0
	s_cselect_b64 s[14:15], -1, 0
	s_cmp_lt_i32 s33, 1
	v_cmp_gt_i32_e32 vcc, s51, v0
	s_waitcnt lgkmcnt(0)
	s_barrier
	s_cbranch_scc1 .LBB25_26
; %bb.19:
	s_mov_b32 s4, s29
	v_mad_u64_u32 v[2:3], s[2:3], v0, s29, 0
	s_lshl_b64 s[6:7], s[4:5], 8
	v_mov_b32_e32 v5, 0
	s_mov_b32 s4, 0
	s_branch .LBB25_21
.LBB25_20:                              ;   in Loop: Header=BB25_21 Depth=1
	s_or_b64 exec, exec, s[8:9]
	s_add_i32 s4, s4, s37
	s_add_i32 s5, s5, s51
	s_cmp_ge_i32 s4, s33
	s_barrier
	s_cbranch_scc1 .LBB25_26
.LBB25_21:                              ; =>This Loop Header: Depth=1
                                        ;     Child Loop BB25_24 Depth 2
	s_and_saveexec_b64 s[8:9], vcc
	s_cbranch_execz .LBB25_20
; %bb.22:                               ;   in Loop: Header=BB25_21 Depth=1
	s_mov_b64 s[16:17], 0
	v_pk_mov_b32 v[6:7], v[2:3], v[2:3] op_sel:[0,1]
	v_mov_b32_e32 v1, v0
	s_branch .LBB25_24
.LBB25_23:                              ;   in Loop: Header=BB25_24 Depth=2
	s_or_b64 exec, exec, s[38:39]
	v_add_u32_e32 v1, 0x100, v1
	v_cmp_le_i32_e64 s[2:3], s51, v1
	v_mov_b32_e32 v4, s7
	s_or_b64 s[16:17], s[2:3], s[16:17]
	v_add_co_u32_e64 v6, s[2:3], s6, v6
	v_addc_co_u32_e64 v7, s[2:3], v7, v4, s[2:3]
	s_waitcnt lgkmcnt(0)
	s_andn2_b64 exec, exec, s[16:17]
	s_cbranch_execz .LBB25_20
.LBB25_24:                              ;   Parent Loop BB25_21 Depth=1
                                        ; =>  This Inner Loop Header: Depth=2
	v_add_u32_e32 v4, v1, v7
	v_lshrrev_b32_e32 v9, s30, v4
	v_add_u32_e32 v4, s4, v9
	v_cmp_gt_i32_e64 s[2:3], s33, v4
	s_and_saveexec_b64 s[38:39], s[2:3]
	s_cbranch_execz .LBB25_23
; %bb.25:                               ;   in Loop: Header=BB25_24 Depth=2
	v_add_u32_e32 v4, s5, v1
	v_lshlrev_b64 v[10:11], 2, v[4:5]
	v_mov_b32_e32 v4, s41
	v_add_co_u32_e64 v10, s[2:3], s40, v10
	v_addc_co_u32_e64 v11, s[2:3], v4, v11, s[2:3]
	global_load_dword v4, v[10:11], off
	v_mul_lo_u32 v9, v9, s48
	v_lshlrev_b32_e32 v9, 2, v9
	s_waitcnt vmcnt(0)
	v_lshlrev_b32_e32 v4, 2, v4
	v_add3_u32 v4, s50, v4, v9
	ds_read_b32 v9, v4
	s_waitcnt lgkmcnt(0)
	v_add_u32_e32 v9, 1, v9
	ds_write_b32 v4, v9
	s_branch .LBB25_23
.LBB25_26:
	v_cmp_eq_u32_e32 vcc, 0, v0
	s_and_saveexec_b64 s[2:3], vcc
	s_cbranch_execz .LBB25_28
; %bb.27:
	v_mov_b32_e32 v1, 0
	ds_write_b32 v1, v1
.LBB25_28:
	s_or_b64 exec, exec, s[2:3]
	v_mbcnt_lo_u32_b32 v1, -1, 0
	v_and_b32_e32 v15, 7, v0
	v_mbcnt_hi_u32_b32 v11, -1, v1
	v_lshrrev_b32_e32 v14, 3, v0
	v_mul_lo_u32 v1, s48, v15
	v_cmp_gt_i32_e64 s[2:3], s36, v14
	v_lshlrev_b32_e32 v9, 2, v1
	v_lshlrev_b32_e32 v10, 2, v14
	s_and_saveexec_b64 s[8:9], s[2:3]
	s_cbranch_execz .LBB25_36
; %bb.29:
	s_cmp_gt_i32 s24, 2
	s_cselect_b64 s[6:7], -1, 0
	s_lshl_b32 s16, s36, 3
	v_lshlrev_b32_e32 v3, 2, v11
	v_add3_u32 v4, v9, s16, v10
	s_lshl_b32 s24, s36, 8
	s_lshl_b32 s45, s36, 5
	v_cndmask_b32_e64 v5, 0, 1, s[6:7]
	v_xor_b32_e32 v1, 4, v3
	v_xor_b32_e32 v2, 8, v3
	;; [unrolled: 1-line block ×3, first 2 shown]
	v_cmp_eq_u32_e64 s[4:5], 0, v15
	v_add3_u32 v4, v4, 0, 8
	s_addk_i32 s24, 0x100
	s_add_i32 s46, s45, 32
	s_mov_b64 s[16:17], 0
	v_cmp_ne_u32_e64 s[6:7], 1, v5
	v_mov_b32_e32 v5, v14
	s_branch .LBB25_31
.LBB25_30:                              ;   in Loop: Header=BB25_31 Depth=1
	s_or_b64 exec, exec, s[38:39]
	v_add_u32_e32 v5, 32, v5
	v_cmp_le_i32_e32 vcc, s36, v5
	s_or_b64 s[16:17], vcc, s[16:17]
	v_add_u32_e32 v4, 0x80, v4
	s_andn2_b64 exec, exec, s[16:17]
	s_cbranch_execz .LBB25_36
.LBB25_31:                              ; =>This Loop Header: Depth=1
                                        ;     Child Loop BB25_33 Depth 2
	s_and_b64 vcc, exec, s[6:7]
	v_mov_b32_e32 v6, 0
	s_cbranch_vccnz .LBB25_34
; %bb.32:                               ;   in Loop: Header=BB25_31 Depth=1
	s_mov_b32 s38, 0
	v_mov_b32_e32 v6, 0
	v_mov_b32_e32 v7, v4
.LBB25_33:                              ;   Parent Loop BB25_31 Depth=1
                                        ; =>  This Inner Loop Header: Depth=2
	ds_read_b32 v12, v7
	v_add_u32_e32 v13, s45, v7
	v_add_u32_e32 v16, s46, v13
	ds_read_b32 v13, v13 offset:32
	v_add_u32_e32 v17, s46, v16
	ds_read_b32 v16, v16 offset:32
	v_add_u32_e32 v18, s46, v17
	ds_read_b32 v17, v17 offset:32
	v_add_u32_e32 v19, s46, v18
	ds_read_b32 v18, v18 offset:32
	ds_read_b32 v20, v19 offset:32
	v_add_u32_e32 v19, s46, v19
	s_waitcnt lgkmcnt(5)
	ds_bpermute_b32 v21, v1, v12
	ds_read_b32 v22, v19 offset:32
	v_add_u32_e32 v19, s46, v19
	s_waitcnt lgkmcnt(6)
	ds_bpermute_b32 v23, v1, v13
	ds_read_b32 v19, v19 offset:32
	s_waitcnt lgkmcnt(7)
	ds_bpermute_b32 v24, v1, v16
	s_waitcnt lgkmcnt(7)
	ds_bpermute_b32 v25, v1, v17
	;; [unrolled: 2-line block ×3, first 2 shown]
	s_waitcnt lgkmcnt(6)
	v_add_u32_e32 v12, v21, v12
	ds_bpermute_b32 v21, v1, v20
	ds_bpermute_b32 v27, v2, v12
	s_waitcnt lgkmcnt(6)
	v_add_u32_e32 v13, v23, v13
	ds_bpermute_b32 v23, v1, v22
	ds_bpermute_b32 v28, v2, v13
	;; [unrolled: 4-line block ×3, first 2 shown]
	s_waitcnt lgkmcnt(7)
	v_add_u32_e32 v17, v25, v17
	ds_bpermute_b32 v25, v2, v17
	s_waitcnt lgkmcnt(7)
	v_add_u32_e32 v18, v26, v18
	ds_bpermute_b32 v26, v2, v18
	s_waitcnt lgkmcnt(7)
	v_add_u32_e32 v20, v21, v20
	s_waitcnt lgkmcnt(6)
	v_add_u32_e32 v12, v27, v12
	ds_bpermute_b32 v21, v2, v20
	s_waitcnt lgkmcnt(6)
	v_add_u32_e32 v22, v23, v22
	ds_bpermute_b32 v23, v3, v12
	;; [unrolled: 3-line block ×5, first 2 shown]
	ds_bpermute_b32 v29, v3, v16
	s_waitcnt lgkmcnt(7)
	v_add_u32_e32 v17, v25, v17
	ds_bpermute_b32 v25, v3, v17
	s_waitcnt lgkmcnt(7)
	v_add_u32_e32 v18, v26, v18
	;; [unrolled: 3-line block ×3, first 2 shown]
	s_waitcnt lgkmcnt(6)
	v_add3_u32 v6, v12, v6, v23
	ds_bpermute_b32 v12, v3, v20
	s_waitcnt lgkmcnt(6)
	v_add_u32_e32 v21, v27, v22
	s_waitcnt lgkmcnt(5)
	v_add3_u32 v6, v6, v13, v24
	ds_bpermute_b32 v13, v3, v21
	s_waitcnt lgkmcnt(5)
	v_add_u32_e32 v19, v28, v19
	s_waitcnt lgkmcnt(4)
	v_add3_u32 v6, v6, v16, v29
	ds_bpermute_b32 v16, v3, v19
	s_waitcnt lgkmcnt(4)
	v_add3_u32 v6, v6, v17, v25
	s_waitcnt lgkmcnt(3)
	v_add3_u32 v6, v6, v18, v26
	;; [unrolled: 2-line block ×3, first 2 shown]
	s_add_i32 s38, s38, 64
	s_waitcnt lgkmcnt(1)
	v_add3_u32 v6, v6, v21, v13
	v_add_u32_e32 v7, s24, v7
	s_cmp_lt_i32 s38, s37
	s_waitcnt lgkmcnt(0)
	v_add3_u32 v6, v6, v19, v16
	s_cbranch_scc1 .LBB25_33
.LBB25_34:                              ;   in Loop: Header=BB25_31 Depth=1
	s_and_saveexec_b64 s[38:39], s[4:5]
	s_cbranch_execz .LBB25_30
; %bb.35:                               ;   in Loop: Header=BB25_31 Depth=1
	v_lshl_add_u32 v7, v5, 2, 0
	ds_write_b32 v7, v6 offset:4
	s_branch .LBB25_30
.LBB25_36:
	s_or_b64 exec, exec, s[8:9]
	s_cmp_lg_u32 s44, 0
	s_mov_b32 s24, 0
	s_waitcnt lgkmcnt(0)
	s_barrier
	s_cbranch_scc1 .LBB25_45
; %bb.37:
	s_cmp_lt_i32 s36, 1
	v_mov_b32_e32 v2, 0
	s_cbranch_scc1 .LBB25_42
; %bb.38:
	v_lshlrev_b32_e32 v2, 2, v11
	v_and_b32_e32 v3, 0xc0, v2
	v_cmp_eq_u32_e32 vcc, 0, v11
	s_add_i32 s38, s25, -1
	v_add_u32_e32 v1, -4, v3
	v_cmp_lt_u32_e64 s[4:5], 15, v11
	v_add_u32_e32 v3, 0xffffffbc, v3
	v_cmp_lt_u32_e64 s[6:7], 31, v11
	v_add3_u32 v4, v2, 0, 4
	s_branch .LBB25_40
.LBB25_39:                              ;   in Loop: Header=BB25_40 Depth=1
	s_or_b64 exec, exec, s[16:17]
	s_add_i32 s24, s24, 64
	s_cmp_lt_i32 s24, s36
	v_add_u32_e32 v4, 0x100, v4
	s_waitcnt lgkmcnt(0)
	s_cbranch_scc0 .LBB25_42
.LBB25_40:                              ; =>This Inner Loop Header: Depth=1
	ds_read_b32 v5, v4
	v_mov_b32_e32 v2, s24
	v_cndmask_b32_e32 v2, 0, v2, vcc
	v_lshl_add_u32 v2, v2, 2, 0
	ds_read_b32 v2, v2
	s_waitcnt lgkmcnt(1)
	v_add_u32_e32 v5, s38, v5
	v_mul_hi_u32 v6, v5, s26
	v_add_u32_e32 v5, v5, v6
	v_lshrrev_b32_e32 v5, s27, v5
	s_waitcnt lgkmcnt(0)
	v_mad_u64_u32 v[6:7], s[8:9], v5, s25, v[2:3]
	s_nop 1
	v_add_u32_dpp v2, v6, v6 row_shr:1 row_mask:0xf bank_mask:0xf bound_ctrl:1
	v_add_u32_e32 v6, s24, v11
	v_cmp_gt_i32_e64 s[8:9], s36, v6
	v_add_u32_dpp v2, v2, v2 row_shr:2 row_mask:0xf bank_mask:0xf bound_ctrl:1
	s_nop 1
	v_add_u32_dpp v2, v2, v2 row_shr:4 row_mask:0xf bank_mask:0xf bound_ctrl:1
	s_nop 1
	v_add_u32_dpp v2, v2, v2 row_shr:8 row_mask:0xf bank_mask:0xf bound_ctrl:1
	ds_bpermute_b32 v5, v1, v2
	s_waitcnt lgkmcnt(0)
	v_cndmask_b32_e64 v5, 0, v5, s[4:5]
	v_add_u32_e32 v2, v2, v5
	ds_bpermute_b32 v5, v3, v2
	s_waitcnt lgkmcnt(0)
	v_cndmask_b32_e64 v5, 0, v5, s[6:7]
	v_add_u32_e32 v2, v2, v5
	s_and_saveexec_b64 s[16:17], s[8:9]
	s_cbranch_execz .LBB25_39
; %bb.41:                               ;   in Loop: Header=BB25_40 Depth=1
	ds_write_b32 v4, v2
	s_branch .LBB25_39
.LBB25_42:
	v_add_u32_e32 v1, s24, v11
	v_subrev_u32_e32 v1, 63, v1
	v_cmp_eq_u32_e32 vcc, s36, v1
	s_and_saveexec_b64 s[4:5], vcc
	s_cbranch_execz .LBB25_44
; %bb.43:
	v_mov_b32_e32 v1, 0
	v_mov_b32_e32 v3, s33
	global_store_dwordx2 v1, v[2:3], s[12:13]
.LBB25_44:
	s_or_b64 exec, exec, s[4:5]
.LBB25_45:
	s_cmp_eq_u64 s[10:11], 0
	s_barrier
	s_cbranch_scc1 .LBB25_55
; %bb.46:
	s_mul_i32 s16, s33, s28
	v_cmp_gt_i32_e32 vcc, s16, v0
	s_and_saveexec_b64 s[6:7], vcc
	s_cbranch_execz .LBB25_54
; %bb.47:
	v_xad_u32 v1, v0, -1, s16
	s_movk_i32 s4, 0xff
	v_cmp_lt_u32_e32 vcc, s4, v1
	s_mov_b64 s[4:5], -1
	v_mov_b32_e32 v2, v0
	s_and_saveexec_b64 s[8:9], vcc
	s_cbranch_execz .LBB25_51
; %bb.48:
	v_lshrrev_b32_e32 v1, 8, v1
	v_add_u32_e32 v6, 1, v1
	v_and_b32_e32 v7, 0x1fffffe, v6
	v_add_u32_e32 v1, 0x100, v0
	s_mov_b64 s[12:13], 0
	v_mov_b32_e32 v12, s41
	v_mov_b32_e32 v13, s11
	;; [unrolled: 1-line block ×4, first 2 shown]
	v_pk_mov_b32 v[4:5], v[0:1], v[0:1] op_sel:[0,1]
.LBB25_49:                              ; =>This Inner Loop Header: Depth=1
	v_mov_b32_e32 v2, v4
	v_lshlrev_b64 v[18:19], 2, v[2:3]
	v_mov_b32_e32 v2, v5
	v_add_co_u32_e32 v20, vcc, s40, v18
	v_addc_co_u32_e32 v21, vcc, v12, v19, vcc
	v_lshlrev_b64 v[22:23], 2, v[2:3]
	v_add_co_u32_e32 v24, vcc, s40, v22
	v_addc_co_u32_e32 v25, vcc, v12, v23, vcc
	global_load_dword v1, v[20:21], off
	global_load_dword v2, v[24:25], off
	v_add_u32_e32 v16, -2, v16
	v_cmp_eq_u32_e32 vcc, 0, v16
	v_add_co_u32_e64 v18, s[4:5], s10, v18
	v_add_u32_e32 v4, 0x200, v4
	v_add_u32_e32 v5, 0x200, v5
	v_addc_co_u32_e64 v19, s[4:5], v13, v19, s[4:5]
	s_or_b64 s[12:13], vcc, s[12:13]
	v_add_co_u32_e32 v20, vcc, s10, v22
	v_addc_co_u32_e32 v21, vcc, v13, v23, vcc
	s_waitcnt vmcnt(1)
	global_store_dword v[18:19], v1, off
	s_waitcnt vmcnt(1)
	global_store_dword v[20:21], v2, off
	s_andn2_b64 exec, exec, s[12:13]
	s_cbranch_execnz .LBB25_49
; %bb.50:
	s_or_b64 exec, exec, s[12:13]
	v_cmp_ne_u32_e32 vcc, v6, v7
	v_lshl_add_u32 v2, v7, 8, v0
	s_orn2_b64 s[4:5], vcc, exec
.LBB25_51:
	s_or_b64 exec, exec, s[8:9]
	s_and_b64 exec, exec, s[4:5]
	s_cbranch_execz .LBB25_54
; %bb.52:
	v_mov_b32_e32 v3, 0
	v_lshlrev_b64 v[6:7], 2, v[2:3]
	v_mov_b32_e32 v1, s41
	v_add_co_u32_e32 v4, vcc, s40, v6
	v_addc_co_u32_e32 v5, vcc, v1, v7, vcc
	v_mov_b32_e32 v1, s11
	v_add_co_u32_e32 v6, vcc, s10, v6
	v_addc_co_u32_e32 v7, vcc, v1, v7, vcc
	s_mov_b64 s[4:5], 0
.LBB25_53:                              ; =>This Inner Loop Header: Depth=1
	global_load_dword v1, v[4:5], off
	v_add_co_u32_e32 v4, vcc, 0x400, v4
	v_add_u32_e32 v2, 0x100, v2
	v_addc_co_u32_e32 v5, vcc, 0, v5, vcc
	v_cmp_le_i32_e32 vcc, s16, v2
	s_or_b64 s[4:5], vcc, s[4:5]
	s_waitcnt vmcnt(0)
	global_store_dword v[6:7], v1, off
	v_add_co_u32_e32 v6, vcc, 0x400, v6
	v_addc_co_u32_e32 v7, vcc, 0, v7, vcc
	s_andn2_b64 exec, exec, s[4:5]
	s_cbranch_execnz .LBB25_53
.LBB25_54:
	s_or_b64 exec, exec, s[6:7]
	s_barrier
.LBB25_55:
	s_lshl_b32 s16, s36, 2
	s_add_i32 s17, s16, 0
	s_add_i32 s52, s17, 4
	v_cmp_gt_i32_e64 s[4:5], s36, v0
	s_and_saveexec_b64 s[6:7], s[4:5]
	s_cbranch_execz .LBB25_61
; %bb.56:
	s_mov_b64 s[8:9], 0
	v_mov_b32_e32 v3, 0
	v_mov_b32_e32 v1, v0
	s_branch .LBB25_58
.LBB25_57:                              ;   in Loop: Header=BB25_58 Depth=1
	s_or_b64 exec, exec, s[10:11]
	v_add_u32_e32 v1, 0x100, v1
	v_cmp_le_i32_e32 vcc, s36, v1
	s_or_b64 s[8:9], vcc, s[8:9]
	s_andn2_b64 exec, exec, s[8:9]
	s_cbranch_execz .LBB25_61
.LBB25_58:                              ; =>This Loop Header: Depth=1
                                        ;     Child Loop BB25_60 Depth 2
	v_lshlrev_b32_e32 v2, 2, v1
	v_add_u32_e32 v4, 0, v2
	ds_read2_b32 v[4:5], v4 offset1:1
	v_add_u32_e32 v2, s52, v2
	s_waitcnt lgkmcnt(0)
	v_cmp_lt_i32_e32 vcc, v4, v5
	ds_write_b32 v2, v4
	s_and_saveexec_b64 s[10:11], vcc
	s_cbranch_execz .LBB25_57
; %bb.59:                               ;   in Loop: Header=BB25_58 Depth=1
	s_mov_b64 s[12:13], 0
.LBB25_60:                              ;   Parent Loop BB25_58 Depth=1
                                        ; =>  This Inner Loop Header: Depth=2
	v_mul_hi_u32 v2, s26, v4
	v_add_u32_e32 v2, v4, v2
	v_add_u32_e32 v4, s25, v4
	v_lshrrev_b32_e32 v2, s27, v2
	v_cmp_ge_i32_e32 vcc, v4, v5
	v_lshlrev_b64 v[6:7], 2, v[2:3]
	v_mov_b32_e32 v12, s23
	s_or_b64 s[12:13], vcc, s[12:13]
	v_add_co_u32_e32 v6, vcc, s22, v6
	v_addc_co_u32_e32 v7, vcc, v12, v7, vcc
	global_store_dword v[6:7], v1, off
	s_andn2_b64 exec, exec, s[12:13]
	s_cbranch_execnz .LBB25_60
	s_branch .LBB25_57
.LBB25_61:
	s_or_b64 exec, exec, s[6:7]
	v_mov_b32_e32 v1, s17
	s_waitcnt lgkmcnt(0)
	s_barrier
	ds_read_b32 v1, v1
	s_add_i32 s6, s17, s16
	v_mov_b32_e32 v2, s6
	s_andn2_b64 vcc, exec, s[14:15]
	s_waitcnt lgkmcnt(0)
	ds_write_b32 v2, v1 offset:4
	s_cbranch_vccnz .LBB25_88
; %bb.62:
	s_sub_i32 s31, s48, s31
	s_add_u32 s55, s18, -4
	s_addc_u32 s56, s19, -1
	v_and_b32_e32 v1, 8, v11
	s_add_u32 s57, s42, -4
	v_cmp_eq_u32_e64 s[8:9], 0, v1
	v_lshrrev_b32_e32 v1, 8, v8
	s_addc_u32 s58, s43, -1
	v_add_u32_e32 v3, 1, v1
	s_add_u32 s59, s20, -4
	s_mov_b32 s23, 0
	s_movk_i32 s10, 0xff
	v_and_b32_e32 v18, 0x1fffffe, v3
	s_addc_u32 s60, s21, -1
	s_lshl_b32 s38, s36, 3
	s_mov_b32 s22, s34
	s_mov_b32 s14, s29
	;; [unrolled: 1-line block ×3, first 2 shown]
	v_lshlrev_b32_e32 v16, 2, v0
	v_cmp_lt_u32_e64 s[10:11], s10, v8
	v_lshl_add_u32 v2, v18, 8, v0
	v_cmp_ne_u32_e64 s[12:13], v3, v18
	s_add_i32 s16, s38, 0
	v_mov_b32_e32 v3, 0
	v_add3_u32 v8, v9, s38, v10
	s_lshl_b32 s63, s36, 5
	v_cmp_gt_i32_e32 vcc, s51, v0
	v_cmp_gt_i32_e64 s[6:7], s37, v15
	v_or_b32_e32 v17, 28, v16
	v_add_u32_e32 v1, 0x100, v0
	s_mov_b32 s53, s35
	s_mov_b32 s54, s31
	v_add_u32_e32 v19, s16, v16
	s_lshl_b32 s61, s31, 2
	s_lshl_b64 s[24:25], s[22:23], 8
	s_sub_i32 s62, 0, s28
	v_mov_b32_e32 v4, v0
	v_mov_b32_e32 v5, v3
	v_mad_u64_u32 v[6:7], s[16:17], v0, s29, 0
	s_lshl_b64 s[26:27], s[14:15], 8
	v_mul_lo_u32 v20, s28, v15
	s_lshl_b32 s29, s28, 3
	v_add3_u32 v21, v8, 0, 8
	s_add_i32 s63, s63, 32
	v_lshlrev_b32_e32 v22, 2, v2
	s_mov_b32 s64, 0x4020100
	s_mov_b32 s65, s23
	s_branch .LBB25_64
.LBB25_63:                              ;   in Loop: Header=BB25_64 Depth=1
	s_or_b64 exec, exec, s[38:39]
	s_add_i32 s65, s65, s37
	s_add_i32 s23, s23, s51
	s_cmp_ge_i32 s65, s33
	v_add_u32_e32 v20, s51, v20
	s_waitcnt lgkmcnt(0)
	s_barrier
	s_cbranch_scc1 .LBB25_88
.LBB25_64:                              ; =>This Loop Header: Depth=1
                                        ;     Child Loop BB25_67 Depth 2
                                        ;     Child Loop BB25_73 Depth 2
	;; [unrolled: 1-line block ×4, first 2 shown]
                                        ;       Child Loop BB25_86 Depth 3
	s_and_saveexec_b64 s[16:17], s[0:1]
	s_cbranch_execz .LBB25_74
; %bb.65:                               ;   in Loop: Header=BB25_64 Depth=1
	s_mov_b64 s[14:15], -1
	v_mov_b32_e32 v23, v0
	v_mov_b32_e32 v8, v16
	v_pk_mov_b32 v[12:13], v[4:5], v[4:5] op_sel:[0,1]
	s_and_saveexec_b64 s[38:39], s[10:11]
	s_cbranch_execz .LBB25_71
; %bb.66:                               ;   in Loop: Header=BB25_64 Depth=1
	s_mov_b64 s[42:43], 0
	v_mov_b32_e32 v10, v18
	v_mov_b32_e32 v11, v19
	v_pk_mov_b32 v[8:9], v[0:1], v[0:1] op_sel:[0,1]
.LBB25_67:                              ;   Parent Loop BB25_64 Depth=1
                                        ; =>  This Inner Loop Header: Depth=2
	v_mul_hi_u32 v12, s22, v8
	v_mul_hi_u32 v13, s34, v9
	v_add_u32_e32 v13, v9, v13
	v_add_u32_e32 v12, v8, v12
	v_add_u32_e32 v10, -2, v10
	v_lshrrev_b32_e32 v12, s53, v12
	v_lshrrev_b32_e32 v13, s35, v13
	v_cmp_eq_u32_e64 s[14:15], 0, v10
	v_mul_lo_u32 v13, v13, s54
	v_mul_lo_u32 v12, v12, s31
	v_add_u32_e32 v9, 0x200, v9
	v_add_u32_e32 v8, 0x200, v8
	s_or_b64 s[42:43], s[14:15], s[42:43]
	v_lshl_add_u32 v12, v12, 2, v11
	v_lshl_add_u32 v13, v13, 2, v11
	v_add_u32_e32 v11, 0x800, v11
	ds_write_b32 v12, v3 offset:8
	ds_write_b32 v13, v3 offset:1032
	s_andn2_b64 exec, exec, s[42:43]
	s_cbranch_execnz .LBB25_67
; %bb.68:                               ;   in Loop: Header=BB25_64 Depth=1
	s_or_b64 exec, exec, s[42:43]
	s_mov_b64 s[14:15], 0
                                        ; implicit-def: $vgpr12_vgpr13
	s_and_saveexec_b64 s[42:43], s[12:13]
	s_xor_b64 s[42:43], exec, s[42:43]
; %bb.69:                               ;   in Loop: Header=BB25_64 Depth=1
	s_mov_b64 s[14:15], exec
	v_pk_mov_b32 v[12:13], v[2:3], v[2:3] op_sel:[0,1]
; %bb.70:                               ;   in Loop: Header=BB25_64 Depth=1
	s_or_b64 exec, exec, s[42:43]
	s_orn2_b64 s[14:15], s[14:15], exec
	v_mov_b32_e32 v23, v2
	v_mov_b32_e32 v8, v22
.LBB25_71:                              ;   in Loop: Header=BB25_64 Depth=1
	s_or_b64 exec, exec, s[38:39]
	s_and_b64 exec, exec, s[14:15]
	s_cbranch_execz .LBB25_74
; %bb.72:                               ;   in Loop: Header=BB25_64 Depth=1
	v_mad_u64_u32 v[10:11], s[14:15], s22, v12, 0
	v_mov_b32_e32 v12, v11
	v_mad_u64_u32 v[12:13], s[14:15], s22, v13, v[12:13]
	v_add_u32_e32 v8, s50, v8
	v_mov_b32_e32 v9, v12
	s_mov_b64 s[38:39], 0
.LBB25_73:                              ;   Parent Loop BB25_64 Depth=1
                                        ; =>  This Inner Loop Header: Depth=2
	v_mov_b32_e32 v12, s25
	v_add_co_u32_e64 v10, s[14:15], s24, v10
	v_add_u32_e32 v11, v23, v9
	v_add_u32_e32 v23, 0x100, v23
	v_addc_co_u32_e64 v9, s[14:15], v9, v12, s[14:15]
	v_lshrrev_b32_e32 v11, s35, v11
	v_cmp_le_i32_e64 s[14:15], s49, v23
	v_mad_u64_u32 v[12:13], s[42:43], s61, v11, v[8:9]
	v_add_u32_e32 v8, 0x400, v8
	s_or_b64 s[38:39], s[14:15], s[38:39]
	ds_write_b32 v12, v3
	s_andn2_b64 exec, exec, s[38:39]
	s_cbranch_execnz .LBB25_73
.LBB25_74:                              ;   in Loop: Header=BB25_64 Depth=1
	s_or_b64 exec, exec, s[16:17]
	s_waitcnt lgkmcnt(0)
	s_barrier
	s_and_saveexec_b64 s[16:17], vcc
	s_cbranch_execz .LBB25_79
; %bb.75:                               ;   in Loop: Header=BB25_64 Depth=1
	s_mov_b64 s[38:39], 0
	v_pk_mov_b32 v[8:9], v[6:7], v[6:7] op_sel:[0,1]
	v_mov_b32_e32 v10, v0
	s_branch .LBB25_77
.LBB25_76:                              ;   in Loop: Header=BB25_77 Depth=2
	s_or_b64 exec, exec, s[42:43]
	v_add_u32_e32 v10, 0x100, v10
	v_cmp_le_i32_e64 s[14:15], s51, v10
	v_mov_b32_e32 v11, s27
	s_or_b64 s[38:39], s[14:15], s[38:39]
	v_add_co_u32_e64 v8, s[14:15], s26, v8
	v_addc_co_u32_e64 v9, s[14:15], v9, v11, s[14:15]
	s_andn2_b64 exec, exec, s[38:39]
	s_cbranch_execz .LBB25_79
.LBB25_77:                              ;   Parent Loop BB25_64 Depth=1
                                        ; =>  This Inner Loop Header: Depth=2
	v_add_u32_e32 v11, v10, v9
	v_lshrrev_b32_e32 v11, s30, v11
	v_add_u32_e32 v12, s65, v11
	v_cmp_gt_i32_e64 s[14:15], s33, v12
	s_and_saveexec_b64 s[42:43], s[14:15]
	s_cbranch_execz .LBB25_76
; %bb.78:                               ;   in Loop: Header=BB25_77 Depth=2
	v_add_u32_e32 v12, s23, v10
	v_ashrrev_i32_e32 v13, 31, v12
	v_lshlrev_b64 v[12:13], 2, v[12:13]
	v_mov_b32_e32 v23, s41
	v_add_co_u32_e64 v12, s[14:15], s40, v12
	v_addc_co_u32_e64 v13, s[14:15], v23, v13, s[14:15]
	global_load_dword v12, v[12:13], off
	v_mul_lo_u32 v13, s62, v11
	v_mul_lo_u32 v11, v11, s48
	v_lshlrev_b32_e32 v11, 2, v11
	v_add3_u32 v13, v10, v13, 1
	s_waitcnt vmcnt(0)
	v_lshlrev_b32_e32 v12, 2, v12
	v_add3_u32 v11, s50, v12, v11
	ds_write_b32 v11, v13
	s_branch .LBB25_76
.LBB25_79:                              ;   in Loop: Header=BB25_64 Depth=1
	s_or_b64 exec, exec, s[16:17]
	s_waitcnt lgkmcnt(0)
	s_barrier
	s_and_saveexec_b64 s[38:39], s[2:3]
	s_cbranch_execz .LBB25_63
; %bb.80:                               ;   in Loop: Header=BB25_64 Depth=1
	s_mov_b64 s[42:43], 0
	v_mov_b32_e32 v8, v21
	v_mov_b32_e32 v9, v14
	s_branch .LBB25_83
.LBB25_81:                              ;   in Loop: Header=BB25_83 Depth=2
	s_or_b64 exec, exec, s[46:47]
.LBB25_82:                              ;   in Loop: Header=BB25_83 Depth=2
	s_or_b64 exec, exec, s[44:45]
	v_add_u32_e32 v9, 32, v9
	v_cmp_le_i32_e64 s[14:15], s36, v9
	s_or_b64 s[42:43], s[14:15], s[42:43]
	v_add_u32_e32 v8, 0x80, v8
	s_waitcnt lgkmcnt(0)
	ds_write_b32 v10, v11
	s_andn2_b64 exec, exec, s[42:43]
	s_cbranch_execz .LBB25_63
.LBB25_83:                              ;   Parent Loop BB25_64 Depth=1
                                        ; =>  This Loop Header: Depth=2
                                        ;       Child Loop BB25_86 Depth 3
	v_lshl_add_u32 v10, v9, 2, 0
	ds_read_b32 v11, v10
	s_and_saveexec_b64 s[44:45], s[6:7]
	s_cbranch_execz .LBB25_82
; %bb.84:                               ;   in Loop: Header=BB25_83 Depth=2
	s_mov_b64 s[46:47], 0
	v_mov_b32_e32 v12, v8
	v_mov_b32_e32 v13, v20
	;; [unrolled: 1-line block ×3, first 2 shown]
	s_branch .LBB25_86
.LBB25_85:                              ;   in Loop: Header=BB25_86 Depth=3
	s_or_b64 exec, exec, s[16:17]
	ds_bpermute_b32 v24, v17, v24
	v_add_u32_e32 v23, 8, v23
	v_cmp_le_i32_e64 s[14:15], s37, v23
	v_add_u32_e32 v13, s29, v13
	s_or_b64 s[46:47], s[14:15], s[46:47]
	s_waitcnt lgkmcnt(0)
	v_add_u32_e32 v11, v24, v11
	v_add_u32_e32 v12, s63, v12
	s_andn2_b64 exec, exec, s[46:47]
	s_cbranch_execz .LBB25_81
.LBB25_86:                              ;   Parent Loop BB25_64 Depth=1
                                        ;     Parent Loop BB25_83 Depth=2
                                        ; =>    This Inner Loop Header: Depth=3
	ds_read_b32 v25, v12
	s_waitcnt lgkmcnt(0)
	v_cmp_ne_u32_e64 s[14:15], 0, v25
	v_cndmask_b32_e64 v24, 0, 1, s[14:15]
	s_nop 1
	v_mov_b32_dpp v24, v24 row_shr:1 row_mask:0xf bank_mask:0xf bound_ctrl:1
	v_addc_co_u32_e64 v26, s[16:17], 0, v24, s[14:15]
	s_nop 1
	v_mov_b32_dpp v26, v26 row_shr:2 row_mask:0xf bank_mask:0xf bound_ctrl:1
	v_addc_co_u32_e64 v24, s[16:17], v26, v24, s[14:15]
	s_nop 1
	v_add_u32_dpp v24, v24, v24 row_shr:4 row_mask:0xf bank_mask:0xf bound_ctrl:1
	s_nop 1
	v_add_u32_dpp v24, v24, v24 row_shr:8 row_mask:0xf bank_mask:0xf bound_ctrl:1
	s_nop 1
	v_mov_b32_dpp v26, v24 row_newbcast:7 row_mask:0xf bank_mask:0xf bound_ctrl:1
	v_cndmask_b32_e64 v26, v26, 0, s[8:9]
	v_sub_u32_e32 v24, v24, v26
	s_and_saveexec_b64 s[16:17], s[14:15]
	s_cbranch_execz .LBB25_85
; %bb.87:                               ;   in Loop: Header=BB25_86 Depth=3
	v_add_u32_e32 v26, v13, v25
	v_ashrrev_i32_e32 v27, 31, v26
	v_lshlrev_b64 v[26:27], 2, v[26:27]
	v_mov_b32_e32 v28, s58
	v_add_co_u32_e64 v26, s[14:15], s57, v26
	v_addc_co_u32_e64 v27, s[14:15], v28, v27, s[14:15]
	global_load_dword v30, v[26:27], off
	v_add_u32_e32 v26, s65, v23
	v_perm_b32 v25, v25, v26, s64
	v_add_u32_e32 v26, v24, v11
	v_ashrrev_i32_e32 v27, 31, v26
	v_lshlrev_b64 v[26:27], 2, v[26:27]
	v_mov_b32_e32 v29, s56
	v_add_co_u32_e64 v28, s[14:15], s55, v26
	v_add_u32_e32 v25, 0xff000000, v25
	v_addc_co_u32_e64 v29, s[14:15], v29, v27, s[14:15]
	global_store_dword v[28:29], v25, off
	v_mov_b32_e32 v25, s60
	v_add_co_u32_e64 v26, s[14:15], s59, v26
	v_addc_co_u32_e64 v27, s[14:15], v25, v27, s[14:15]
	s_waitcnt vmcnt(1)
	global_store_dword v[26:27], v30, off
	s_branch .LBB25_85
.LBB25_88:
	s_and_saveexec_b64 s[0:1], s[4:5]
	s_cbranch_execz .LBB25_99
; %bb.89:
	s_and_b32 s0, s33, 0xffffff
	s_lshl_b32 s1, s28, 24
	s_or_b32 s4, s0, s1
	s_mov_b32 s5, s4
	s_add_i32 s52, s52, 4
	s_mov_b64 s[2:3], 0
	s_mov_b32 s8, 0
	v_mov_b32_e32 v1, 0
	s_branch .LBB25_91
.LBB25_90:                              ;   in Loop: Header=BB25_91 Depth=1
	s_or_b64 exec, exec, s[12:13]
	v_add_u32_e32 v0, 0x100, v0
	v_cmp_le_i32_e32 vcc, s36, v0
	s_or_b64 s[2:3], vcc, s[2:3]
	s_andn2_b64 exec, exec, s[2:3]
	s_cbranch_execz .LBB25_99
.LBB25_91:                              ; =>This Loop Header: Depth=1
                                        ;     Child Loop BB25_94 Depth 2
                                        ;     Child Loop BB25_98 Depth 2
	v_lshlrev_b32_e32 v2, 2, v0
	v_add_u32_e32 v3, 0, v2
	v_add_u32_e32 v4, s52, v2
	ds_read_b32 v2, v3
	ds_read_b32 v8, v4
	s_waitcnt lgkmcnt(0)
	v_cmp_gt_i32_e32 vcc, v8, v2
	s_and_saveexec_b64 s[12:13], vcc
	s_cbranch_execz .LBB25_90
; %bb.92:                               ;   in Loop: Header=BB25_91 Depth=1
	v_sub_u32_e32 v3, v8, v2
	v_cmp_lt_u32_e32 vcc, 15, v3
	s_mov_b64 s[6:7], -1
	s_and_saveexec_b64 s[0:1], vcc
	s_cbranch_execz .LBB25_96
; %bb.93:                               ;   in Loop: Header=BB25_91 Depth=1
	v_and_b32_e32 v6, -16, v3
	s_mov_b64 s[14:15], 0
	v_mov_b32_e32 v4, v2
	v_mov_b32_e32 v7, v6
.LBB25_94:                              ;   Parent Loop BB25_91 Depth=1
                                        ; =>  This Inner Loop Header: Depth=2
	v_ashrrev_i32_e32 v5, 31, v4
	v_lshlrev_b64 v[14:15], 2, v[4:5]
	v_mov_b32_e32 v5, s19
	v_add_co_u32_e32 v16, vcc, s18, v14
	v_addc_co_u32_e32 v17, vcc, v5, v15, vcc
	s_mov_b32 s6, s4
	s_mov_b32 s7, s5
	v_pk_mov_b32 v[12:13], s[6:7], s[6:7] op_sel:[0,1]
	v_mov_b32_e32 v5, s21
	v_add_co_u32_e32 v14, vcc, s20, v14
	v_pk_mov_b32 v[10:11], s[4:5], s[4:5] op_sel:[0,1]
	v_addc_co_u32_e32 v15, vcc, v5, v15, vcc
	s_mov_b32 s10, s8
	s_mov_b32 s11, s8
	v_add_u32_e32 v7, -16, v7
	global_store_dwordx4 v[16:17], v[10:13], off
	global_store_dwordx4 v[16:17], v[10:13], off offset:16
	global_store_dwordx4 v[16:17], v[10:13], off offset:32
	;; [unrolled: 1-line block ×3, first 2 shown]
	s_mov_b32 s9, s8
	v_pk_mov_b32 v[12:13], s[10:11], s[10:11] op_sel:[0,1]
	v_cmp_eq_u32_e32 vcc, 0, v7
	v_pk_mov_b32 v[10:11], s[8:9], s[8:9] op_sel:[0,1]
	s_or_b64 s[14:15], vcc, s[14:15]
	v_add_u32_e32 v4, 16, v4
	global_store_dwordx4 v[14:15], v[10:13], off
	global_store_dwordx4 v[14:15], v[10:13], off offset:16
	global_store_dwordx4 v[14:15], v[10:13], off offset:32
	;; [unrolled: 1-line block ×3, first 2 shown]
	s_andn2_b64 exec, exec, s[14:15]
	s_cbranch_execnz .LBB25_94
; %bb.95:                               ;   in Loop: Header=BB25_91 Depth=1
	s_or_b64 exec, exec, s[14:15]
	v_cmp_ne_u32_e32 vcc, v3, v6
	v_add_u32_e32 v2, v2, v6
	s_orn2_b64 s[6:7], vcc, exec
.LBB25_96:                              ;   in Loop: Header=BB25_91 Depth=1
	s_or_b64 exec, exec, s[0:1]
	s_and_b64 exec, exec, s[6:7]
	s_cbranch_execz .LBB25_90
; %bb.97:                               ;   in Loop: Header=BB25_91 Depth=1
	v_ashrrev_i32_e32 v3, 31, v2
	v_lshlrev_b64 v[6:7], 2, v[2:3]
	v_mov_b32_e32 v3, s19
	v_add_co_u32_e32 v4, vcc, s18, v6
	v_addc_co_u32_e32 v5, vcc, v3, v7, vcc
	v_mov_b32_e32 v3, s21
	v_add_co_u32_e32 v6, vcc, s20, v6
	v_addc_co_u32_e32 v7, vcc, v3, v7, vcc
	s_mov_b64 s[6:7], 0
.LBB25_98:                              ;   Parent Loop BB25_91 Depth=1
                                        ; =>  This Inner Loop Header: Depth=2
	global_store_dword v[6:7], v1, off
	v_add_co_u32_e32 v6, vcc, 4, v6
	v_mov_b32_e32 v3, s4
	v_add_u32_e32 v2, 1, v2
	v_addc_co_u32_e32 v7, vcc, 0, v7, vcc
	global_store_dword v[4:5], v3, off
	v_cmp_ge_i32_e32 vcc, v2, v8
	v_add_co_u32_e64 v4, s[0:1], 4, v4
	s_or_b64 s[6:7], vcc, s[6:7]
	v_addc_co_u32_e64 v5, vcc, 0, v5, s[0:1]
	s_andn2_b64 exec, exec, s[6:7]
	s_cbranch_execnz .LBB25_98
	s_branch .LBB25_90
.LBB25_99:
	s_endpgm
	.section	.rodata,"a",@progbits
	.p2align	6, 0x0
	.amdhsa_kernel _ZN5aiter22opus_moe_sorting_entryINS_16MoeSortingKernelINS_19MoeSortingProblemExIifLi8ELb0ELb0ELb1ELb1ELi0EEEEENS4_5KargsEEEvT0_
		.amdhsa_group_segment_fixed_size 0
		.amdhsa_private_segment_fixed_size 0
		.amdhsa_kernarg_size 400
		.amdhsa_user_sgpr_count 6
		.amdhsa_user_sgpr_private_segment_buffer 1
		.amdhsa_user_sgpr_dispatch_ptr 0
		.amdhsa_user_sgpr_queue_ptr 0
		.amdhsa_user_sgpr_kernarg_segment_ptr 1
		.amdhsa_user_sgpr_dispatch_id 0
		.amdhsa_user_sgpr_flat_scratch_init 0
		.amdhsa_user_sgpr_kernarg_preload_length 0
		.amdhsa_user_sgpr_kernarg_preload_offset 0
		.amdhsa_user_sgpr_private_segment_size 0
		.amdhsa_uses_dynamic_stack 0
		.amdhsa_system_sgpr_private_segment_wavefront_offset 0
		.amdhsa_system_sgpr_workgroup_id_x 1
		.amdhsa_system_sgpr_workgroup_id_y 0
		.amdhsa_system_sgpr_workgroup_id_z 0
		.amdhsa_system_sgpr_workgroup_info 0
		.amdhsa_system_vgpr_workitem_id 0
		.amdhsa_next_free_vgpr 31
		.amdhsa_next_free_sgpr 66
		.amdhsa_accum_offset 32
		.amdhsa_reserve_vcc 1
		.amdhsa_reserve_flat_scratch 0
		.amdhsa_float_round_mode_32 0
		.amdhsa_float_round_mode_16_64 0
		.amdhsa_float_denorm_mode_32 3
		.amdhsa_float_denorm_mode_16_64 3
		.amdhsa_dx10_clamp 1
		.amdhsa_ieee_mode 1
		.amdhsa_fp16_overflow 0
		.amdhsa_tg_split 0
		.amdhsa_exception_fp_ieee_invalid_op 0
		.amdhsa_exception_fp_denorm_src 0
		.amdhsa_exception_fp_ieee_div_zero 0
		.amdhsa_exception_fp_ieee_overflow 0
		.amdhsa_exception_fp_ieee_underflow 0
		.amdhsa_exception_fp_ieee_inexact 0
		.amdhsa_exception_int_div_zero 0
	.end_amdhsa_kernel
	.section	.text._ZN5aiter22opus_moe_sorting_entryINS_16MoeSortingKernelINS_19MoeSortingProblemExIifLi8ELb0ELb0ELb1ELb1ELi0EEEEENS4_5KargsEEEvT0_,"axG",@progbits,_ZN5aiter22opus_moe_sorting_entryINS_16MoeSortingKernelINS_19MoeSortingProblemExIifLi8ELb0ELb0ELb1ELb1ELi0EEEEENS4_5KargsEEEvT0_,comdat
.Lfunc_end25:
	.size	_ZN5aiter22opus_moe_sorting_entryINS_16MoeSortingKernelINS_19MoeSortingProblemExIifLi8ELb0ELb0ELb1ELb1ELi0EEEEENS4_5KargsEEEvT0_, .Lfunc_end25-_ZN5aiter22opus_moe_sorting_entryINS_16MoeSortingKernelINS_19MoeSortingProblemExIifLi8ELb0ELb0ELb1ELb1ELi0EEEEENS4_5KargsEEEvT0_
                                        ; -- End function
	.section	.AMDGPU.csdata,"",@progbits
; Kernel info:
; codeLenInByte = 4692
; NumSgprs: 70
; NumVgprs: 31
; NumAgprs: 0
; TotalNumVgprs: 31
; ScratchSize: 0
; MemoryBound: 0
; FloatMode: 240
; IeeeMode: 1
; LDSByteSize: 0 bytes/workgroup (compile time only)
; SGPRBlocks: 8
; VGPRBlocks: 3
; NumSGPRsForWavesPerEU: 70
; NumVGPRsForWavesPerEU: 31
; AccumOffset: 32
; Occupancy: 8
; WaveLimiterHint : 1
; COMPUTE_PGM_RSRC2:SCRATCH_EN: 0
; COMPUTE_PGM_RSRC2:USER_SGPR: 6
; COMPUTE_PGM_RSRC2:TRAP_HANDLER: 0
; COMPUTE_PGM_RSRC2:TGID_X_EN: 1
; COMPUTE_PGM_RSRC2:TGID_Y_EN: 0
; COMPUTE_PGM_RSRC2:TGID_Z_EN: 0
; COMPUTE_PGM_RSRC2:TIDIG_COMP_CNT: 0
; COMPUTE_PGM_RSRC3_GFX90A:ACCUM_OFFSET: 7
; COMPUTE_PGM_RSRC3_GFX90A:TG_SPLIT: 0
	.section	.text._ZN5aiter22opus_moe_sorting_entryINS_16MoeSortingKernelINS_19MoeSortingProblemExIifLi4ELb0ELb0ELb1ELb1ELi0EEEEENS4_5KargsEEEvT0_,"axG",@progbits,_ZN5aiter22opus_moe_sorting_entryINS_16MoeSortingKernelINS_19MoeSortingProblemExIifLi4ELb0ELb0ELb1ELb1ELi0EEEEENS4_5KargsEEEvT0_,comdat
	.protected	_ZN5aiter22opus_moe_sorting_entryINS_16MoeSortingKernelINS_19MoeSortingProblemExIifLi4ELb0ELb0ELb1ELb1ELi0EEEEENS4_5KargsEEEvT0_ ; -- Begin function _ZN5aiter22opus_moe_sorting_entryINS_16MoeSortingKernelINS_19MoeSortingProblemExIifLi4ELb0ELb0ELb1ELb1ELi0EEEEENS4_5KargsEEEvT0_
	.globl	_ZN5aiter22opus_moe_sorting_entryINS_16MoeSortingKernelINS_19MoeSortingProblemExIifLi4ELb0ELb0ELb1ELb1ELi0EEEEENS4_5KargsEEEvT0_
	.p2align	8
	.type	_ZN5aiter22opus_moe_sorting_entryINS_16MoeSortingKernelINS_19MoeSortingProblemExIifLi4ELb0ELb0ELb1ELb1ELi0EEEEENS4_5KargsEEEvT0_,@function
_ZN5aiter22opus_moe_sorting_entryINS_16MoeSortingKernelINS_19MoeSortingProblemExIifLi4ELb0ELb0ELb1ELb1ELi0EEEEENS4_5KargsEEEvT0_: ; @_ZN5aiter22opus_moe_sorting_entryINS_16MoeSortingKernelINS_19MoeSortingProblemExIifLi4ELb0ELb0ELb1ELb1ELi0EEEEENS4_5KargsEEEvT0_
; %bb.0:
	s_load_dwordx8 s[16:23], s[4:5], 0x18
	s_load_dwordx4 s[12:15], s[4:5], 0x38
	s_load_dwordx2 s[10:11], s[4:5], 0x48
	s_load_dwordx4 s[36:39], s[4:5], 0x54
	s_cmp_eq_u32 s6, 0
	s_waitcnt lgkmcnt(0)
	s_load_dword s33, s[16:17], 0x0
	s_cbranch_scc1 .LBB26_7
; %bb.1:
	s_cmp_eq_u64 s[14:15], 0
	s_mov_b64 s[2:3], 0
	s_cbranch_scc1 .LBB26_6
; %bb.2:
	s_waitcnt lgkmcnt(0)
	s_ashr_i32 s0, s33, 31
	s_mul_i32 s7, s38, s37
	s_mul_hi_i32 s1, s38, s37
	s_mul_i32 s0, s7, s0
	s_mul_hi_u32 s8, s7, s33
	s_add_i32 s0, s8, s0
	s_mul_i32 s1, s1, s33
	s_add_i32 s1, s0, s1
	s_mul_i32 s0, s7, s33
	s_ashr_i32 s7, s1, 31
	s_lshr_b32 s8, s7, 28
	s_add_u32 s0, s0, s8
	s_addc_u32 s1, s1, 0
	v_lshl_add_u32 v1, s6, 8, v0
	s_ashr_i64 s[8:9], s[0:1], 4
	v_add_u32_e32 v2, 0xffffff00, v1
	v_mov_b32_e32 v3, 0
	s_mov_b32 s7, 0
	v_cmp_gt_i64_e32 vcc, s[8:9], v[2:3]
	s_and_saveexec_b64 s[16:17], vcc
	s_cbranch_execz .LBB26_5
; %bb.3:
	s_load_dword s0, s[4:5], 0x90
	v_lshlrev_b64 v[4:5], 4, v[2:3]
	v_mov_b32_e32 v1, s15
	v_add_co_u32_e32 v8, vcc, s14, v4
	s_waitcnt lgkmcnt(0)
	s_lshl_b32 s0, s0, 8
	s_add_i32 s6, s0, 0xffffff00
	s_lshl_b64 s[14:15], s[6:7], 4
	v_pk_mov_b32 v[6:7], v[2:3], v[2:3] op_sel:[0,1]
	v_addc_co_u32_e32 v9, vcc, v1, v5, vcc
	s_mov_b64 s[24:25], 0
	v_mov_b32_e32 v2, v3
	v_mov_b32_e32 v4, v3
	;; [unrolled: 1-line block ×5, first 2 shown]
.LBB26_4:                               ; =>This Inner Loop Header: Depth=1
	v_add_co_u32_e32 v6, vcc, s6, v6
	v_addc_co_u32_e32 v7, vcc, v7, v1, vcc
	global_store_dwordx4 v[8:9], v[2:5], off
	v_add_co_u32_e32 v8, vcc, s14, v8
	v_cmp_le_i64_e64 s[0:1], s[8:9], v[6:7]
	s_or_b64 s[24:25], s[0:1], s[24:25]
	v_addc_co_u32_e32 v9, vcc, v9, v10, vcc
	s_andn2_b64 exec, exec, s[24:25]
	s_cbranch_execnz .LBB26_4
.LBB26_5:
	s_or_b64 exec, exec, s[16:17]
.LBB26_6:
	s_andn2_b64 vcc, exec, s[2:3]
	s_cbranch_vccz .LBB26_8
	s_branch .LBB26_99
.LBB26_7:
.LBB26_8:
	s_load_dwordx8 s[24:31], s[4:5], 0x64
	s_load_dwordx4 s[40:43], s[4:5], 0x0
	s_load_dwordx2 s[34:35], s[4:5], 0x84
	v_lshrrev_b32_e32 v1, 6, v0
	v_readfirstlane_b32 s44, v1
	s_waitcnt lgkmcnt(0)
	s_add_i32 s37, s24, -2
	s_mul_i32 s49, s37, s36
	s_add_i32 s48, s36, 1
	v_cmp_gt_i32_e64 s[0:1], s49, v0
	v_xad_u32 v8, v0, -1, s49
	s_and_saveexec_b64 s[2:3], s[0:1]
	s_cbranch_execz .LBB26_18
; %bb.9:
	s_movk_i32 s6, 0xff
	s_mov_b32 s5, 0
	s_mov_b32 s4, s34
	s_sub_i32 s14, s48, s31
	v_cmp_lt_u32_e32 vcc, s6, v8
	s_mov_b64 s[8:9], 0
                                        ; implicit-def: $vgpr1
                                        ; implicit-def: $sgpr15
	s_and_saveexec_b64 s[6:7], vcc
	s_xor_b64 s[6:7], exec, s[6:7]
	s_cbranch_execnz .LBB26_12
; %bb.10:
	s_or_saveexec_b64 s[6:7], s[6:7]
	v_mov_b32_e32 v2, s15
	s_xor_b64 exec, exec, s[6:7]
	s_cbranch_execnz .LBB26_15
.LBB26_11:
	s_or_b64 exec, exec, s[6:7]
	s_and_b64 exec, exec, s[8:9]
	s_cbranch_execnz .LBB26_16
	s_branch .LBB26_18
.LBB26_12:
	v_lshrrev_b32_e32 v1, 8, v8
	v_add_u32_e32 v4, 1, v1
	s_lshl_b32 s15, s36, 3
	v_and_b32_e32 v5, 0x1fffffe, v4
	v_add_u32_e32 v1, 0x100, v0
	s_add_i32 s8, s15, 0
	s_mov_b32 s16, s4
	s_mov_b32 s17, s35
	;; [unrolled: 1-line block ×4, first 2 shown]
	v_lshl_add_u32 v6, v0, 2, s8
	s_mov_b64 s[8:9], 0
	v_mov_b32_e32 v7, 0
	v_mov_b32_e32 v9, v5
	v_pk_mov_b32 v[2:3], v[0:1], v[0:1] op_sel:[0,1]
.LBB26_13:                              ; =>This Inner Loop Header: Depth=1
	v_mul_hi_u32 v1, s4, v2
	v_mul_hi_u32 v10, s16, v3
	v_add_u32_e32 v10, v3, v10
	v_add_u32_e32 v1, v2, v1
	v_add_u32_e32 v9, -2, v9
	v_lshrrev_b32_e32 v1, s17, v1
	v_lshrrev_b32_e32 v10, s38, v10
	v_cmp_eq_u32_e32 vcc, 0, v9
	v_mul_lo_u32 v10, v10, s39
	v_mul_lo_u32 v1, v1, s14
	v_add_u32_e32 v3, 0x200, v3
	v_add_u32_e32 v2, 0x200, v2
	s_or_b64 s[8:9], vcc, s[8:9]
	v_lshl_add_u32 v1, v1, 2, v6
	v_lshl_add_u32 v10, v10, 2, v6
	v_add_u32_e32 v6, 0x800, v6
	ds_write_b32 v1, v7 offset:8
	ds_write_b32 v10, v7 offset:1032
	s_andn2_b64 exec, exec, s[8:9]
	s_cbranch_execnz .LBB26_13
; %bb.14:
	s_or_b64 exec, exec, s[8:9]
	v_cmp_ne_u32_e32 vcc, v4, v5
	v_lshl_add_u32 v1, v5, 8, v0
	s_and_b64 s[8:9], vcc, exec
	s_or_saveexec_b64 s[6:7], s[6:7]
	v_mov_b32_e32 v2, s15
	s_xor_b64 exec, exec, s[6:7]
	s_cbranch_execz .LBB26_11
.LBB26_15:
	s_lshl_b32 s15, s36, 3
	v_mov_b32_e32 v2, s15
	s_or_b64 s[8:9], s[8:9], exec
	v_mov_b32_e32 v1, v0
	s_or_b64 exec, exec, s[6:7]
	s_and_b64 exec, exec, s[8:9]
	s_cbranch_execz .LBB26_18
.LBB26_16:
	v_lshl_add_u32 v2, v1, 2, v2
	v_mad_u64_u32 v[4:5], s[6:7], v1, s4, 0
	s_lshl_b64 s[4:5], s[4:5], 8
	s_lshl_b32 s8, s14, 2
	v_add3_u32 v2, v2, 0, 8
	s_mov_b64 s[6:7], 0
	v_mov_b32_e32 v3, 0
	v_mov_b32_e32 v6, s5
.LBB26_17:                              ; =>This Inner Loop Header: Depth=1
	v_add_co_u32_e32 v4, vcc, s4, v4
	v_add_u32_e32 v7, v1, v5
	v_add_u32_e32 v1, 0x100, v1
	v_addc_co_u32_e32 v5, vcc, v5, v6, vcc
	v_lshrrev_b32_e32 v7, s35, v7
	v_cmp_le_i32_e32 vcc, s49, v1
	v_mad_u64_u32 v[10:11], s[14:15], s8, v7, v[2:3]
	v_add_u32_e32 v2, 0x400, v2
	s_or_b64 s[6:7], vcc, s[6:7]
	ds_write_b32 v10, v3
	s_andn2_b64 exec, exec, s[6:7]
	s_cbranch_execnz .LBB26_17
.LBB26_18:
	s_or_b64 exec, exec, s[2:3]
	s_lshl_b32 s2, s48, 3
	s_add_i32 s50, s2, 0
	s_cmp_gt_i32 s33, 0
	s_mul_i32 s51, s28, s37
	s_mov_b32 s5, 0
	s_cselect_b64 s[14:15], -1, 0
	s_cmp_lt_i32 s33, 1
	v_cmp_gt_i32_e32 vcc, s51, v0
	s_waitcnt lgkmcnt(0)
	s_barrier
	s_cbranch_scc1 .LBB26_26
; %bb.19:
	s_mov_b32 s4, s29
	v_mad_u64_u32 v[2:3], s[2:3], v0, s29, 0
	s_lshl_b64 s[6:7], s[4:5], 8
	v_mov_b32_e32 v5, 0
	s_mov_b32 s4, 0
	s_branch .LBB26_21
.LBB26_20:                              ;   in Loop: Header=BB26_21 Depth=1
	s_or_b64 exec, exec, s[8:9]
	s_add_i32 s4, s4, s37
	s_add_i32 s5, s5, s51
	s_cmp_ge_i32 s4, s33
	s_barrier
	s_cbranch_scc1 .LBB26_26
.LBB26_21:                              ; =>This Loop Header: Depth=1
                                        ;     Child Loop BB26_24 Depth 2
	s_and_saveexec_b64 s[8:9], vcc
	s_cbranch_execz .LBB26_20
; %bb.22:                               ;   in Loop: Header=BB26_21 Depth=1
	s_mov_b64 s[16:17], 0
	v_pk_mov_b32 v[6:7], v[2:3], v[2:3] op_sel:[0,1]
	v_mov_b32_e32 v1, v0
	s_branch .LBB26_24
.LBB26_23:                              ;   in Loop: Header=BB26_24 Depth=2
	s_or_b64 exec, exec, s[38:39]
	v_add_u32_e32 v1, 0x100, v1
	v_cmp_le_i32_e64 s[2:3], s51, v1
	v_mov_b32_e32 v4, s7
	s_or_b64 s[16:17], s[2:3], s[16:17]
	v_add_co_u32_e64 v6, s[2:3], s6, v6
	v_addc_co_u32_e64 v7, s[2:3], v7, v4, s[2:3]
	s_waitcnt lgkmcnt(0)
	s_andn2_b64 exec, exec, s[16:17]
	s_cbranch_execz .LBB26_20
.LBB26_24:                              ;   Parent Loop BB26_21 Depth=1
                                        ; =>  This Inner Loop Header: Depth=2
	v_add_u32_e32 v4, v1, v7
	v_lshrrev_b32_e32 v9, s30, v4
	v_add_u32_e32 v4, s4, v9
	v_cmp_gt_i32_e64 s[2:3], s33, v4
	s_and_saveexec_b64 s[38:39], s[2:3]
	s_cbranch_execz .LBB26_23
; %bb.25:                               ;   in Loop: Header=BB26_24 Depth=2
	v_add_u32_e32 v4, s5, v1
	v_lshlrev_b64 v[10:11], 2, v[4:5]
	v_mov_b32_e32 v4, s41
	v_add_co_u32_e64 v10, s[2:3], s40, v10
	v_addc_co_u32_e64 v11, s[2:3], v4, v11, s[2:3]
	global_load_dword v4, v[10:11], off
	v_mul_lo_u32 v9, v9, s48
	v_lshlrev_b32_e32 v9, 2, v9
	s_waitcnt vmcnt(0)
	v_lshlrev_b32_e32 v4, 2, v4
	v_add3_u32 v4, s50, v4, v9
	ds_read_b32 v9, v4
	s_waitcnt lgkmcnt(0)
	v_add_u32_e32 v9, 1, v9
	ds_write_b32 v4, v9
	s_branch .LBB26_23
.LBB26_26:
	v_cmp_eq_u32_e32 vcc, 0, v0
	s_and_saveexec_b64 s[2:3], vcc
	s_cbranch_execz .LBB26_28
; %bb.27:
	v_mov_b32_e32 v1, 0
	ds_write_b32 v1, v1
.LBB26_28:
	s_or_b64 exec, exec, s[2:3]
	v_mbcnt_lo_u32_b32 v1, -1, 0
	v_and_b32_e32 v15, 7, v0
	v_mbcnt_hi_u32_b32 v11, -1, v1
	v_lshrrev_b32_e32 v14, 3, v0
	v_mul_lo_u32 v1, s48, v15
	v_cmp_gt_i32_e64 s[2:3], s36, v14
	v_lshlrev_b32_e32 v9, 2, v14
	v_lshlrev_b32_e32 v10, 2, v1
	s_and_saveexec_b64 s[8:9], s[2:3]
	s_cbranch_execz .LBB26_36
; %bb.29:
	s_cmp_gt_i32 s24, 2
	s_mul_i32 s16, s36, 0x68
	s_cselect_b64 s[6:7], -1, 0
	s_add_i32 s16, s16, 0
	v_add_u32_e32 v4, s16, v10
	s_mul_i32 s16, s36, 0x48
	s_add_i32 s16, s16, 0
	v_add_u32_e32 v5, s16, v10
	s_mul_i32 s16, s36, 40
	s_add_i32 s16, s16, 0
	v_add3_u32 v6, s16, v10, 40
	s_lshl_b32 s16, s36, 3
	v_lshlrev_b32_e32 v3, 2, v11
	s_lshl_b32 s24, s36, 7
	s_add_i32 s16, s16, 0
	v_cndmask_b32_e64 v12, 0, 1, s[6:7]
	v_xor_b32_e32 v1, 4, v3
	v_xor_b32_e32 v2, 8, v3
	;; [unrolled: 1-line block ×3, first 2 shown]
	v_cmp_eq_u32_e64 s[4:5], 0, v15
	v_add_u32_e32 v4, 0x68, v4
	s_addk_i32 s24, 0x80
	v_add_u32_e32 v5, 0x48, v5
	v_add3_u32 v7, s16, v10, 8
	s_mov_b64 s[16:17], 0
	v_cmp_ne_u32_e64 s[6:7], 1, v12
	v_mov_b32_e32 v12, v14
	s_branch .LBB26_31
.LBB26_30:                              ;   in Loop: Header=BB26_31 Depth=1
	s_or_b64 exec, exec, s[38:39]
	v_add_u32_e32 v12, 32, v12
	v_cmp_le_i32_e32 vcc, s36, v12
	v_add_u32_e32 v4, 0x80, v4
	v_add_u32_e32 v5, 0x80, v5
	v_add_u32_e32 v6, 0x80, v6
	s_or_b64 s[16:17], vcc, s[16:17]
	v_add_u32_e32 v7, 0x80, v7
	s_andn2_b64 exec, exec, s[16:17]
	s_cbranch_execz .LBB26_36
.LBB26_31:                              ; =>This Loop Header: Depth=1
                                        ;     Child Loop BB26_33 Depth 2
	s_and_b64 vcc, exec, s[6:7]
	v_mov_b32_e32 v13, 0
	s_cbranch_vccnz .LBB26_34
; %bb.32:                               ;   in Loop: Header=BB26_31 Depth=1
	s_mov_b32 s38, 0
	v_mov_b32_e32 v13, 0
	v_mov_b32_e32 v16, v7
	;; [unrolled: 1-line block ×5, first 2 shown]
.LBB26_33:                              ;   Parent Loop BB26_31 Depth=1
                                        ; =>  This Inner Loop Header: Depth=2
	v_add_u32_e32 v20, v16, v9
	v_add_u32_e32 v21, v17, v9
	;; [unrolled: 1-line block ×4, first 2 shown]
	ds_read_b32 v20, v20
	ds_read_b32 v21, v21
	;; [unrolled: 1-line block ×4, first 2 shown]
	s_add_i32 s38, s38, 32
	s_waitcnt lgkmcnt(3)
	ds_bpermute_b32 v24, v1, v20
	s_waitcnt lgkmcnt(3)
	ds_bpermute_b32 v25, v1, v21
	;; [unrolled: 2-line block ×4, first 2 shown]
	v_add_u32_e32 v19, s24, v19
	s_waitcnt lgkmcnt(3)
	v_add_u32_e32 v20, v24, v20
	s_waitcnt lgkmcnt(2)
	v_add_u32_e32 v21, v25, v21
	ds_bpermute_b32 v24, v2, v20
	s_waitcnt lgkmcnt(2)
	v_add_u32_e32 v22, v26, v22
	ds_bpermute_b32 v25, v2, v21
	;; [unrolled: 3-line block ×3, first 2 shown]
	ds_bpermute_b32 v27, v2, v23
	s_waitcnt lgkmcnt(3)
	v_add_u32_e32 v20, v24, v20
	s_waitcnt lgkmcnt(2)
	v_add_u32_e32 v21, v25, v21
	ds_bpermute_b32 v24, v3, v20
	s_waitcnt lgkmcnt(2)
	v_add_u32_e32 v22, v26, v22
	ds_bpermute_b32 v25, v3, v21
	;; [unrolled: 3-line block ×3, first 2 shown]
	ds_bpermute_b32 v27, v3, v23
	s_waitcnt lgkmcnt(3)
	v_add3_u32 v13, v20, v13, v24
	s_waitcnt lgkmcnt(2)
	v_add3_u32 v13, v13, v21, v25
	v_add_u32_e32 v18, s24, v18
	s_waitcnt lgkmcnt(1)
	v_add3_u32 v13, v13, v22, v26
	v_add_u32_e32 v17, s24, v17
	v_add_u32_e32 v16, s24, v16
	s_cmp_lt_i32 s38, s37
	s_waitcnt lgkmcnt(0)
	v_add3_u32 v13, v13, v23, v27
	s_cbranch_scc1 .LBB26_33
.LBB26_34:                              ;   in Loop: Header=BB26_31 Depth=1
	s_and_saveexec_b64 s[38:39], s[4:5]
	s_cbranch_execz .LBB26_30
; %bb.35:                               ;   in Loop: Header=BB26_31 Depth=1
	v_lshl_add_u32 v16, v12, 2, 0
	ds_write_b32 v16, v13 offset:4
	s_branch .LBB26_30
.LBB26_36:
	s_or_b64 exec, exec, s[8:9]
	s_cmp_lg_u32 s44, 0
	s_mov_b32 s24, 0
	s_waitcnt lgkmcnt(0)
	s_barrier
	s_cbranch_scc1 .LBB26_45
; %bb.37:
	s_cmp_lt_i32 s36, 1
	v_mov_b32_e32 v2, 0
	s_cbranch_scc1 .LBB26_42
; %bb.38:
	v_lshlrev_b32_e32 v2, 2, v11
	v_and_b32_e32 v3, 0xc0, v2
	v_cmp_eq_u32_e32 vcc, 0, v11
	s_add_i32 s38, s25, -1
	v_add_u32_e32 v1, -4, v3
	v_cmp_lt_u32_e64 s[4:5], 15, v11
	v_add_u32_e32 v3, 0xffffffbc, v3
	v_cmp_lt_u32_e64 s[6:7], 31, v11
	v_add3_u32 v4, v2, 0, 4
	s_branch .LBB26_40
.LBB26_39:                              ;   in Loop: Header=BB26_40 Depth=1
	s_or_b64 exec, exec, s[16:17]
	s_add_i32 s24, s24, 64
	s_cmp_lt_i32 s24, s36
	v_add_u32_e32 v4, 0x100, v4
	s_waitcnt lgkmcnt(0)
	s_cbranch_scc0 .LBB26_42
.LBB26_40:                              ; =>This Inner Loop Header: Depth=1
	ds_read_b32 v5, v4
	v_mov_b32_e32 v2, s24
	v_cndmask_b32_e32 v2, 0, v2, vcc
	v_lshl_add_u32 v2, v2, 2, 0
	ds_read_b32 v2, v2
	s_waitcnt lgkmcnt(1)
	v_add_u32_e32 v5, s38, v5
	v_mul_hi_u32 v6, v5, s26
	v_add_u32_e32 v5, v5, v6
	v_lshrrev_b32_e32 v5, s27, v5
	s_waitcnt lgkmcnt(0)
	v_mad_u64_u32 v[6:7], s[8:9], v5, s25, v[2:3]
	s_nop 1
	v_add_u32_dpp v2, v6, v6 row_shr:1 row_mask:0xf bank_mask:0xf bound_ctrl:1
	v_add_u32_e32 v6, s24, v11
	v_cmp_gt_i32_e64 s[8:9], s36, v6
	v_add_u32_dpp v2, v2, v2 row_shr:2 row_mask:0xf bank_mask:0xf bound_ctrl:1
	s_nop 1
	v_add_u32_dpp v2, v2, v2 row_shr:4 row_mask:0xf bank_mask:0xf bound_ctrl:1
	s_nop 1
	v_add_u32_dpp v2, v2, v2 row_shr:8 row_mask:0xf bank_mask:0xf bound_ctrl:1
	ds_bpermute_b32 v5, v1, v2
	s_waitcnt lgkmcnt(0)
	v_cndmask_b32_e64 v5, 0, v5, s[4:5]
	v_add_u32_e32 v2, v2, v5
	ds_bpermute_b32 v5, v3, v2
	s_waitcnt lgkmcnt(0)
	v_cndmask_b32_e64 v5, 0, v5, s[6:7]
	v_add_u32_e32 v2, v2, v5
	s_and_saveexec_b64 s[16:17], s[8:9]
	s_cbranch_execz .LBB26_39
; %bb.41:                               ;   in Loop: Header=BB26_40 Depth=1
	ds_write_b32 v4, v2
	s_branch .LBB26_39
.LBB26_42:
	v_add_u32_e32 v1, s24, v11
	v_subrev_u32_e32 v1, 63, v1
	v_cmp_eq_u32_e32 vcc, s36, v1
	s_and_saveexec_b64 s[4:5], vcc
	s_cbranch_execz .LBB26_44
; %bb.43:
	v_mov_b32_e32 v1, 0
	v_mov_b32_e32 v3, s33
	global_store_dwordx2 v1, v[2:3], s[12:13]
.LBB26_44:
	s_or_b64 exec, exec, s[4:5]
.LBB26_45:
	s_cmp_eq_u64 s[10:11], 0
	s_barrier
	s_cbranch_scc1 .LBB26_55
; %bb.46:
	s_mul_i32 s16, s33, s28
	v_cmp_gt_i32_e32 vcc, s16, v0
	s_and_saveexec_b64 s[6:7], vcc
	s_cbranch_execz .LBB26_54
; %bb.47:
	v_xad_u32 v1, v0, -1, s16
	s_movk_i32 s4, 0xff
	v_cmp_lt_u32_e32 vcc, s4, v1
	s_mov_b64 s[4:5], -1
	v_mov_b32_e32 v2, v0
	s_and_saveexec_b64 s[8:9], vcc
	s_cbranch_execz .LBB26_51
; %bb.48:
	v_lshrrev_b32_e32 v1, 8, v1
	v_add_u32_e32 v6, 1, v1
	v_and_b32_e32 v7, 0x1fffffe, v6
	v_add_u32_e32 v1, 0x100, v0
	s_mov_b64 s[12:13], 0
	v_mov_b32_e32 v12, s41
	v_mov_b32_e32 v13, s11
	;; [unrolled: 1-line block ×4, first 2 shown]
	v_pk_mov_b32 v[4:5], v[0:1], v[0:1] op_sel:[0,1]
.LBB26_49:                              ; =>This Inner Loop Header: Depth=1
	v_mov_b32_e32 v2, v4
	v_lshlrev_b64 v[18:19], 2, v[2:3]
	v_mov_b32_e32 v2, v5
	v_add_co_u32_e32 v20, vcc, s40, v18
	v_addc_co_u32_e32 v21, vcc, v12, v19, vcc
	v_lshlrev_b64 v[22:23], 2, v[2:3]
	v_add_co_u32_e32 v24, vcc, s40, v22
	v_addc_co_u32_e32 v25, vcc, v12, v23, vcc
	global_load_dword v1, v[20:21], off
	global_load_dword v2, v[24:25], off
	v_add_u32_e32 v16, -2, v16
	v_cmp_eq_u32_e32 vcc, 0, v16
	v_add_co_u32_e64 v18, s[4:5], s10, v18
	v_add_u32_e32 v4, 0x200, v4
	v_add_u32_e32 v5, 0x200, v5
	v_addc_co_u32_e64 v19, s[4:5], v13, v19, s[4:5]
	s_or_b64 s[12:13], vcc, s[12:13]
	v_add_co_u32_e32 v20, vcc, s10, v22
	v_addc_co_u32_e32 v21, vcc, v13, v23, vcc
	s_waitcnt vmcnt(1)
	global_store_dword v[18:19], v1, off
	s_waitcnt vmcnt(1)
	global_store_dword v[20:21], v2, off
	s_andn2_b64 exec, exec, s[12:13]
	s_cbranch_execnz .LBB26_49
; %bb.50:
	s_or_b64 exec, exec, s[12:13]
	v_cmp_ne_u32_e32 vcc, v6, v7
	v_lshl_add_u32 v2, v7, 8, v0
	s_orn2_b64 s[4:5], vcc, exec
.LBB26_51:
	s_or_b64 exec, exec, s[8:9]
	s_and_b64 exec, exec, s[4:5]
	s_cbranch_execz .LBB26_54
; %bb.52:
	v_mov_b32_e32 v3, 0
	v_lshlrev_b64 v[6:7], 2, v[2:3]
	v_mov_b32_e32 v1, s41
	v_add_co_u32_e32 v4, vcc, s40, v6
	v_addc_co_u32_e32 v5, vcc, v1, v7, vcc
	v_mov_b32_e32 v1, s11
	v_add_co_u32_e32 v6, vcc, s10, v6
	v_addc_co_u32_e32 v7, vcc, v1, v7, vcc
	s_mov_b64 s[4:5], 0
.LBB26_53:                              ; =>This Inner Loop Header: Depth=1
	global_load_dword v1, v[4:5], off
	v_add_co_u32_e32 v4, vcc, 0x400, v4
	v_add_u32_e32 v2, 0x100, v2
	v_addc_co_u32_e32 v5, vcc, 0, v5, vcc
	v_cmp_le_i32_e32 vcc, s16, v2
	s_or_b64 s[4:5], vcc, s[4:5]
	s_waitcnt vmcnt(0)
	global_store_dword v[6:7], v1, off
	v_add_co_u32_e32 v6, vcc, 0x400, v6
	v_addc_co_u32_e32 v7, vcc, 0, v7, vcc
	s_andn2_b64 exec, exec, s[4:5]
	s_cbranch_execnz .LBB26_53
.LBB26_54:
	s_or_b64 exec, exec, s[6:7]
	s_barrier
.LBB26_55:
	s_lshl_b32 s16, s36, 2
	s_add_i32 s17, s16, 0
	s_add_i32 s52, s17, 4
	v_cmp_gt_i32_e64 s[4:5], s36, v0
	s_and_saveexec_b64 s[6:7], s[4:5]
	s_cbranch_execz .LBB26_61
; %bb.56:
	s_mov_b64 s[8:9], 0
	v_mov_b32_e32 v3, 0
	v_mov_b32_e32 v1, v0
	s_branch .LBB26_58
.LBB26_57:                              ;   in Loop: Header=BB26_58 Depth=1
	s_or_b64 exec, exec, s[10:11]
	v_add_u32_e32 v1, 0x100, v1
	v_cmp_le_i32_e32 vcc, s36, v1
	s_or_b64 s[8:9], vcc, s[8:9]
	s_andn2_b64 exec, exec, s[8:9]
	s_cbranch_execz .LBB26_61
.LBB26_58:                              ; =>This Loop Header: Depth=1
                                        ;     Child Loop BB26_60 Depth 2
	v_lshlrev_b32_e32 v2, 2, v1
	v_add_u32_e32 v4, 0, v2
	ds_read2_b32 v[4:5], v4 offset1:1
	v_add_u32_e32 v2, s52, v2
	s_waitcnt lgkmcnt(0)
	v_cmp_lt_i32_e32 vcc, v4, v5
	ds_write_b32 v2, v4
	s_and_saveexec_b64 s[10:11], vcc
	s_cbranch_execz .LBB26_57
; %bb.59:                               ;   in Loop: Header=BB26_58 Depth=1
	s_mov_b64 s[12:13], 0
.LBB26_60:                              ;   Parent Loop BB26_58 Depth=1
                                        ; =>  This Inner Loop Header: Depth=2
	v_mul_hi_u32 v2, s26, v4
	v_add_u32_e32 v2, v4, v2
	v_add_u32_e32 v4, s25, v4
	v_lshrrev_b32_e32 v2, s27, v2
	v_cmp_ge_i32_e32 vcc, v4, v5
	v_lshlrev_b64 v[6:7], 2, v[2:3]
	v_mov_b32_e32 v12, s23
	s_or_b64 s[12:13], vcc, s[12:13]
	v_add_co_u32_e32 v6, vcc, s22, v6
	v_addc_co_u32_e32 v7, vcc, v12, v7, vcc
	global_store_dword v[6:7], v1, off
	s_andn2_b64 exec, exec, s[12:13]
	s_cbranch_execnz .LBB26_60
	s_branch .LBB26_57
.LBB26_61:
	s_or_b64 exec, exec, s[6:7]
	v_mov_b32_e32 v1, s17
	s_waitcnt lgkmcnt(0)
	s_barrier
	ds_read_b32 v1, v1
	s_add_i32 s6, s17, s16
	v_mov_b32_e32 v2, s6
	s_andn2_b64 vcc, exec, s[14:15]
	s_waitcnt lgkmcnt(0)
	ds_write_b32 v2, v1 offset:4
	s_cbranch_vccnz .LBB26_88
; %bb.62:
	s_sub_i32 s31, s48, s31
	s_add_u32 s55, s18, -4
	s_addc_u32 s56, s19, -1
	v_and_b32_e32 v1, 8, v11
	s_add_u32 s57, s42, -4
	v_cmp_eq_u32_e64 s[8:9], 0, v1
	v_lshrrev_b32_e32 v1, 8, v8
	s_addc_u32 s58, s43, -1
	v_add_u32_e32 v3, 1, v1
	s_add_u32 s59, s20, -4
	s_mov_b32 s23, 0
	s_movk_i32 s10, 0xff
	v_and_b32_e32 v18, 0x1fffffe, v3
	s_addc_u32 s60, s21, -1
	s_lshl_b32 s38, s36, 3
	s_mov_b32 s22, s34
	s_mov_b32 s14, s29
	;; [unrolled: 1-line block ×3, first 2 shown]
	v_lshlrev_b32_e32 v16, 2, v0
	v_cmp_lt_u32_e64 s[10:11], s10, v8
	v_lshl_add_u32 v2, v18, 8, v0
	v_cmp_ne_u32_e64 s[12:13], v3, v18
	s_add_i32 s16, s38, 0
	v_mov_b32_e32 v3, 0
	v_add3_u32 v8, v10, s38, v9
	s_lshl_b32 s63, s36, 5
	v_cmp_gt_i32_e32 vcc, s51, v0
	v_cmp_gt_i32_e64 s[6:7], s37, v15
	v_or_b32_e32 v17, 28, v16
	v_add_u32_e32 v1, 0x100, v0
	s_mov_b32 s53, s35
	s_mov_b32 s54, s31
	v_add_u32_e32 v19, s16, v16
	s_lshl_b32 s61, s31, 2
	s_lshl_b64 s[24:25], s[22:23], 8
	s_sub_i32 s62, 0, s28
	v_mov_b32_e32 v4, v0
	v_mov_b32_e32 v5, v3
	v_mad_u64_u32 v[6:7], s[16:17], v0, s29, 0
	s_lshl_b64 s[26:27], s[14:15], 8
	v_mul_lo_u32 v20, s28, v15
	s_lshl_b32 s29, s28, 3
	v_add3_u32 v21, v8, 0, 8
	s_add_i32 s63, s63, 32
	v_lshlrev_b32_e32 v22, 2, v2
	s_mov_b32 s64, 0x4020100
	s_mov_b32 s65, s23
	s_branch .LBB26_64
.LBB26_63:                              ;   in Loop: Header=BB26_64 Depth=1
	s_or_b64 exec, exec, s[38:39]
	s_add_i32 s65, s65, s37
	s_add_i32 s23, s23, s51
	s_cmp_ge_i32 s65, s33
	v_add_u32_e32 v20, s51, v20
	s_waitcnt lgkmcnt(0)
	s_barrier
	s_cbranch_scc1 .LBB26_88
.LBB26_64:                              ; =>This Loop Header: Depth=1
                                        ;     Child Loop BB26_67 Depth 2
                                        ;     Child Loop BB26_73 Depth 2
	;; [unrolled: 1-line block ×4, first 2 shown]
                                        ;       Child Loop BB26_86 Depth 3
	s_and_saveexec_b64 s[16:17], s[0:1]
	s_cbranch_execz .LBB26_74
; %bb.65:                               ;   in Loop: Header=BB26_64 Depth=1
	s_mov_b64 s[14:15], -1
	v_mov_b32_e32 v23, v0
	v_mov_b32_e32 v8, v16
	v_pk_mov_b32 v[12:13], v[4:5], v[4:5] op_sel:[0,1]
	s_and_saveexec_b64 s[38:39], s[10:11]
	s_cbranch_execz .LBB26_71
; %bb.66:                               ;   in Loop: Header=BB26_64 Depth=1
	s_mov_b64 s[42:43], 0
	v_mov_b32_e32 v10, v18
	v_mov_b32_e32 v11, v19
	v_pk_mov_b32 v[8:9], v[0:1], v[0:1] op_sel:[0,1]
.LBB26_67:                              ;   Parent Loop BB26_64 Depth=1
                                        ; =>  This Inner Loop Header: Depth=2
	v_mul_hi_u32 v12, s22, v8
	v_mul_hi_u32 v13, s34, v9
	v_add_u32_e32 v13, v9, v13
	v_add_u32_e32 v12, v8, v12
	v_add_u32_e32 v10, -2, v10
	v_lshrrev_b32_e32 v12, s53, v12
	v_lshrrev_b32_e32 v13, s35, v13
	v_cmp_eq_u32_e64 s[14:15], 0, v10
	v_mul_lo_u32 v13, v13, s54
	v_mul_lo_u32 v12, v12, s31
	v_add_u32_e32 v9, 0x200, v9
	v_add_u32_e32 v8, 0x200, v8
	s_or_b64 s[42:43], s[14:15], s[42:43]
	v_lshl_add_u32 v12, v12, 2, v11
	v_lshl_add_u32 v13, v13, 2, v11
	v_add_u32_e32 v11, 0x800, v11
	ds_write_b32 v12, v3 offset:8
	ds_write_b32 v13, v3 offset:1032
	s_andn2_b64 exec, exec, s[42:43]
	s_cbranch_execnz .LBB26_67
; %bb.68:                               ;   in Loop: Header=BB26_64 Depth=1
	s_or_b64 exec, exec, s[42:43]
	s_mov_b64 s[14:15], 0
                                        ; implicit-def: $vgpr12_vgpr13
	s_and_saveexec_b64 s[42:43], s[12:13]
	s_xor_b64 s[42:43], exec, s[42:43]
; %bb.69:                               ;   in Loop: Header=BB26_64 Depth=1
	s_mov_b64 s[14:15], exec
	v_pk_mov_b32 v[12:13], v[2:3], v[2:3] op_sel:[0,1]
; %bb.70:                               ;   in Loop: Header=BB26_64 Depth=1
	s_or_b64 exec, exec, s[42:43]
	s_orn2_b64 s[14:15], s[14:15], exec
	v_mov_b32_e32 v23, v2
	v_mov_b32_e32 v8, v22
.LBB26_71:                              ;   in Loop: Header=BB26_64 Depth=1
	s_or_b64 exec, exec, s[38:39]
	s_and_b64 exec, exec, s[14:15]
	s_cbranch_execz .LBB26_74
; %bb.72:                               ;   in Loop: Header=BB26_64 Depth=1
	v_mad_u64_u32 v[10:11], s[14:15], s22, v12, 0
	v_mov_b32_e32 v12, v11
	v_mad_u64_u32 v[12:13], s[14:15], s22, v13, v[12:13]
	v_add_u32_e32 v8, s50, v8
	v_mov_b32_e32 v9, v12
	s_mov_b64 s[38:39], 0
.LBB26_73:                              ;   Parent Loop BB26_64 Depth=1
                                        ; =>  This Inner Loop Header: Depth=2
	v_mov_b32_e32 v12, s25
	v_add_co_u32_e64 v10, s[14:15], s24, v10
	v_add_u32_e32 v11, v23, v9
	v_add_u32_e32 v23, 0x100, v23
	v_addc_co_u32_e64 v9, s[14:15], v9, v12, s[14:15]
	v_lshrrev_b32_e32 v11, s35, v11
	v_cmp_le_i32_e64 s[14:15], s49, v23
	v_mad_u64_u32 v[12:13], s[42:43], s61, v11, v[8:9]
	v_add_u32_e32 v8, 0x400, v8
	s_or_b64 s[38:39], s[14:15], s[38:39]
	ds_write_b32 v12, v3
	s_andn2_b64 exec, exec, s[38:39]
	s_cbranch_execnz .LBB26_73
.LBB26_74:                              ;   in Loop: Header=BB26_64 Depth=1
	s_or_b64 exec, exec, s[16:17]
	s_waitcnt lgkmcnt(0)
	s_barrier
	s_and_saveexec_b64 s[16:17], vcc
	s_cbranch_execz .LBB26_79
; %bb.75:                               ;   in Loop: Header=BB26_64 Depth=1
	s_mov_b64 s[38:39], 0
	v_pk_mov_b32 v[8:9], v[6:7], v[6:7] op_sel:[0,1]
	v_mov_b32_e32 v10, v0
	s_branch .LBB26_77
.LBB26_76:                              ;   in Loop: Header=BB26_77 Depth=2
	s_or_b64 exec, exec, s[42:43]
	v_add_u32_e32 v10, 0x100, v10
	v_cmp_le_i32_e64 s[14:15], s51, v10
	v_mov_b32_e32 v11, s27
	s_or_b64 s[38:39], s[14:15], s[38:39]
	v_add_co_u32_e64 v8, s[14:15], s26, v8
	v_addc_co_u32_e64 v9, s[14:15], v9, v11, s[14:15]
	s_andn2_b64 exec, exec, s[38:39]
	s_cbranch_execz .LBB26_79
.LBB26_77:                              ;   Parent Loop BB26_64 Depth=1
                                        ; =>  This Inner Loop Header: Depth=2
	v_add_u32_e32 v11, v10, v9
	v_lshrrev_b32_e32 v11, s30, v11
	v_add_u32_e32 v12, s65, v11
	v_cmp_gt_i32_e64 s[14:15], s33, v12
	s_and_saveexec_b64 s[42:43], s[14:15]
	s_cbranch_execz .LBB26_76
; %bb.78:                               ;   in Loop: Header=BB26_77 Depth=2
	v_add_u32_e32 v12, s23, v10
	v_ashrrev_i32_e32 v13, 31, v12
	v_lshlrev_b64 v[12:13], 2, v[12:13]
	v_mov_b32_e32 v23, s41
	v_add_co_u32_e64 v12, s[14:15], s40, v12
	v_addc_co_u32_e64 v13, s[14:15], v23, v13, s[14:15]
	global_load_dword v12, v[12:13], off
	v_mul_lo_u32 v13, s62, v11
	v_mul_lo_u32 v11, v11, s48
	v_lshlrev_b32_e32 v11, 2, v11
	v_add3_u32 v13, v10, v13, 1
	s_waitcnt vmcnt(0)
	v_lshlrev_b32_e32 v12, 2, v12
	v_add3_u32 v11, s50, v12, v11
	ds_write_b32 v11, v13
	s_branch .LBB26_76
.LBB26_79:                              ;   in Loop: Header=BB26_64 Depth=1
	s_or_b64 exec, exec, s[16:17]
	s_waitcnt lgkmcnt(0)
	s_barrier
	s_and_saveexec_b64 s[38:39], s[2:3]
	s_cbranch_execz .LBB26_63
; %bb.80:                               ;   in Loop: Header=BB26_64 Depth=1
	s_mov_b64 s[42:43], 0
	v_mov_b32_e32 v8, v21
	v_mov_b32_e32 v9, v14
	s_branch .LBB26_83
.LBB26_81:                              ;   in Loop: Header=BB26_83 Depth=2
	s_or_b64 exec, exec, s[46:47]
.LBB26_82:                              ;   in Loop: Header=BB26_83 Depth=2
	s_or_b64 exec, exec, s[44:45]
	v_add_u32_e32 v9, 32, v9
	v_cmp_le_i32_e64 s[14:15], s36, v9
	s_or_b64 s[42:43], s[14:15], s[42:43]
	v_add_u32_e32 v8, 0x80, v8
	s_waitcnt lgkmcnt(0)
	ds_write_b32 v10, v11
	s_andn2_b64 exec, exec, s[42:43]
	s_cbranch_execz .LBB26_63
.LBB26_83:                              ;   Parent Loop BB26_64 Depth=1
                                        ; =>  This Loop Header: Depth=2
                                        ;       Child Loop BB26_86 Depth 3
	v_lshl_add_u32 v10, v9, 2, 0
	ds_read_b32 v11, v10
	s_and_saveexec_b64 s[44:45], s[6:7]
	s_cbranch_execz .LBB26_82
; %bb.84:                               ;   in Loop: Header=BB26_83 Depth=2
	s_mov_b64 s[46:47], 0
	v_mov_b32_e32 v12, v8
	v_mov_b32_e32 v13, v20
	;; [unrolled: 1-line block ×3, first 2 shown]
	s_branch .LBB26_86
.LBB26_85:                              ;   in Loop: Header=BB26_86 Depth=3
	s_or_b64 exec, exec, s[16:17]
	ds_bpermute_b32 v24, v17, v24
	v_add_u32_e32 v23, 8, v23
	v_cmp_le_i32_e64 s[14:15], s37, v23
	v_add_u32_e32 v13, s29, v13
	s_or_b64 s[46:47], s[14:15], s[46:47]
	s_waitcnt lgkmcnt(0)
	v_add_u32_e32 v11, v24, v11
	v_add_u32_e32 v12, s63, v12
	s_andn2_b64 exec, exec, s[46:47]
	s_cbranch_execz .LBB26_81
.LBB26_86:                              ;   Parent Loop BB26_64 Depth=1
                                        ;     Parent Loop BB26_83 Depth=2
                                        ; =>    This Inner Loop Header: Depth=3
	ds_read_b32 v25, v12
	s_waitcnt lgkmcnt(0)
	v_cmp_ne_u32_e64 s[14:15], 0, v25
	v_cndmask_b32_e64 v24, 0, 1, s[14:15]
	s_nop 1
	v_mov_b32_dpp v24, v24 row_shr:1 row_mask:0xf bank_mask:0xf bound_ctrl:1
	v_addc_co_u32_e64 v26, s[16:17], 0, v24, s[14:15]
	s_nop 1
	v_mov_b32_dpp v26, v26 row_shr:2 row_mask:0xf bank_mask:0xf bound_ctrl:1
	v_addc_co_u32_e64 v24, s[16:17], v26, v24, s[14:15]
	s_nop 1
	v_add_u32_dpp v24, v24, v24 row_shr:4 row_mask:0xf bank_mask:0xf bound_ctrl:1
	s_nop 1
	v_add_u32_dpp v24, v24, v24 row_shr:8 row_mask:0xf bank_mask:0xf bound_ctrl:1
	s_nop 1
	v_mov_b32_dpp v26, v24 row_newbcast:7 row_mask:0xf bank_mask:0xf bound_ctrl:1
	v_cndmask_b32_e64 v26, v26, 0, s[8:9]
	v_sub_u32_e32 v24, v24, v26
	s_and_saveexec_b64 s[16:17], s[14:15]
	s_cbranch_execz .LBB26_85
; %bb.87:                               ;   in Loop: Header=BB26_86 Depth=3
	v_add_u32_e32 v26, v13, v25
	v_ashrrev_i32_e32 v27, 31, v26
	v_lshlrev_b64 v[26:27], 2, v[26:27]
	v_mov_b32_e32 v28, s58
	v_add_co_u32_e64 v26, s[14:15], s57, v26
	v_addc_co_u32_e64 v27, s[14:15], v28, v27, s[14:15]
	global_load_dword v30, v[26:27], off
	v_add_u32_e32 v26, s65, v23
	v_perm_b32 v25, v25, v26, s64
	v_add_u32_e32 v26, v24, v11
	v_ashrrev_i32_e32 v27, 31, v26
	v_lshlrev_b64 v[26:27], 2, v[26:27]
	v_mov_b32_e32 v29, s56
	v_add_co_u32_e64 v28, s[14:15], s55, v26
	v_add_u32_e32 v25, 0xff000000, v25
	v_addc_co_u32_e64 v29, s[14:15], v29, v27, s[14:15]
	global_store_dword v[28:29], v25, off
	v_mov_b32_e32 v25, s60
	v_add_co_u32_e64 v26, s[14:15], s59, v26
	v_addc_co_u32_e64 v27, s[14:15], v25, v27, s[14:15]
	s_waitcnt vmcnt(1)
	global_store_dword v[26:27], v30, off
	s_branch .LBB26_85
.LBB26_88:
	s_and_saveexec_b64 s[0:1], s[4:5]
	s_cbranch_execz .LBB26_99
; %bb.89:
	s_and_b32 s0, s33, 0xffffff
	s_lshl_b32 s1, s28, 24
	s_or_b32 s4, s0, s1
	s_mov_b32 s5, s4
	s_add_i32 s52, s52, 4
	s_mov_b64 s[2:3], 0
	s_mov_b32 s8, 0
	v_mov_b32_e32 v1, 0
	s_branch .LBB26_91
.LBB26_90:                              ;   in Loop: Header=BB26_91 Depth=1
	s_or_b64 exec, exec, s[12:13]
	v_add_u32_e32 v0, 0x100, v0
	v_cmp_le_i32_e32 vcc, s36, v0
	s_or_b64 s[2:3], vcc, s[2:3]
	s_andn2_b64 exec, exec, s[2:3]
	s_cbranch_execz .LBB26_99
.LBB26_91:                              ; =>This Loop Header: Depth=1
                                        ;     Child Loop BB26_94 Depth 2
                                        ;     Child Loop BB26_98 Depth 2
	v_lshlrev_b32_e32 v2, 2, v0
	v_add_u32_e32 v3, 0, v2
	v_add_u32_e32 v4, s52, v2
	ds_read_b32 v2, v3
	ds_read_b32 v8, v4
	s_waitcnt lgkmcnt(0)
	v_cmp_gt_i32_e32 vcc, v8, v2
	s_and_saveexec_b64 s[12:13], vcc
	s_cbranch_execz .LBB26_90
; %bb.92:                               ;   in Loop: Header=BB26_91 Depth=1
	v_sub_u32_e32 v3, v8, v2
	v_cmp_lt_u32_e32 vcc, 15, v3
	s_mov_b64 s[6:7], -1
	s_and_saveexec_b64 s[0:1], vcc
	s_cbranch_execz .LBB26_96
; %bb.93:                               ;   in Loop: Header=BB26_91 Depth=1
	v_and_b32_e32 v6, -16, v3
	s_mov_b64 s[14:15], 0
	v_mov_b32_e32 v4, v2
	v_mov_b32_e32 v7, v6
.LBB26_94:                              ;   Parent Loop BB26_91 Depth=1
                                        ; =>  This Inner Loop Header: Depth=2
	v_ashrrev_i32_e32 v5, 31, v4
	v_lshlrev_b64 v[14:15], 2, v[4:5]
	v_mov_b32_e32 v5, s19
	v_add_co_u32_e32 v16, vcc, s18, v14
	v_addc_co_u32_e32 v17, vcc, v5, v15, vcc
	s_mov_b32 s6, s4
	s_mov_b32 s7, s5
	v_pk_mov_b32 v[12:13], s[6:7], s[6:7] op_sel:[0,1]
	v_mov_b32_e32 v5, s21
	v_add_co_u32_e32 v14, vcc, s20, v14
	v_pk_mov_b32 v[10:11], s[4:5], s[4:5] op_sel:[0,1]
	v_addc_co_u32_e32 v15, vcc, v5, v15, vcc
	s_mov_b32 s10, s8
	s_mov_b32 s11, s8
	v_add_u32_e32 v7, -16, v7
	global_store_dwordx4 v[16:17], v[10:13], off
	global_store_dwordx4 v[16:17], v[10:13], off offset:16
	global_store_dwordx4 v[16:17], v[10:13], off offset:32
	;; [unrolled: 1-line block ×3, first 2 shown]
	s_mov_b32 s9, s8
	v_pk_mov_b32 v[12:13], s[10:11], s[10:11] op_sel:[0,1]
	v_cmp_eq_u32_e32 vcc, 0, v7
	v_pk_mov_b32 v[10:11], s[8:9], s[8:9] op_sel:[0,1]
	s_or_b64 s[14:15], vcc, s[14:15]
	v_add_u32_e32 v4, 16, v4
	global_store_dwordx4 v[14:15], v[10:13], off
	global_store_dwordx4 v[14:15], v[10:13], off offset:16
	global_store_dwordx4 v[14:15], v[10:13], off offset:32
	;; [unrolled: 1-line block ×3, first 2 shown]
	s_andn2_b64 exec, exec, s[14:15]
	s_cbranch_execnz .LBB26_94
; %bb.95:                               ;   in Loop: Header=BB26_91 Depth=1
	s_or_b64 exec, exec, s[14:15]
	v_cmp_ne_u32_e32 vcc, v3, v6
	v_add_u32_e32 v2, v2, v6
	s_orn2_b64 s[6:7], vcc, exec
.LBB26_96:                              ;   in Loop: Header=BB26_91 Depth=1
	s_or_b64 exec, exec, s[0:1]
	s_and_b64 exec, exec, s[6:7]
	s_cbranch_execz .LBB26_90
; %bb.97:                               ;   in Loop: Header=BB26_91 Depth=1
	v_ashrrev_i32_e32 v3, 31, v2
	v_lshlrev_b64 v[6:7], 2, v[2:3]
	v_mov_b32_e32 v3, s19
	v_add_co_u32_e32 v4, vcc, s18, v6
	v_addc_co_u32_e32 v5, vcc, v3, v7, vcc
	v_mov_b32_e32 v3, s21
	v_add_co_u32_e32 v6, vcc, s20, v6
	v_addc_co_u32_e32 v7, vcc, v3, v7, vcc
	s_mov_b64 s[6:7], 0
.LBB26_98:                              ;   Parent Loop BB26_91 Depth=1
                                        ; =>  This Inner Loop Header: Depth=2
	global_store_dword v[6:7], v1, off
	v_add_co_u32_e32 v6, vcc, 4, v6
	v_mov_b32_e32 v3, s4
	v_add_u32_e32 v2, 1, v2
	v_addc_co_u32_e32 v7, vcc, 0, v7, vcc
	global_store_dword v[4:5], v3, off
	v_cmp_ge_i32_e32 vcc, v2, v8
	v_add_co_u32_e64 v4, s[0:1], 4, v4
	s_or_b64 s[6:7], vcc, s[6:7]
	v_addc_co_u32_e64 v5, vcc, 0, v5, s[0:1]
	s_andn2_b64 exec, exec, s[6:7]
	s_cbranch_execnz .LBB26_98
	s_branch .LBB26_90
.LBB26_99:
	s_endpgm
	.section	.rodata,"a",@progbits
	.p2align	6, 0x0
	.amdhsa_kernel _ZN5aiter22opus_moe_sorting_entryINS_16MoeSortingKernelINS_19MoeSortingProblemExIifLi4ELb0ELb0ELb1ELb1ELi0EEEEENS4_5KargsEEEvT0_
		.amdhsa_group_segment_fixed_size 0
		.amdhsa_private_segment_fixed_size 0
		.amdhsa_kernarg_size 400
		.amdhsa_user_sgpr_count 6
		.amdhsa_user_sgpr_private_segment_buffer 1
		.amdhsa_user_sgpr_dispatch_ptr 0
		.amdhsa_user_sgpr_queue_ptr 0
		.amdhsa_user_sgpr_kernarg_segment_ptr 1
		.amdhsa_user_sgpr_dispatch_id 0
		.amdhsa_user_sgpr_flat_scratch_init 0
		.amdhsa_user_sgpr_kernarg_preload_length 0
		.amdhsa_user_sgpr_kernarg_preload_offset 0
		.amdhsa_user_sgpr_private_segment_size 0
		.amdhsa_uses_dynamic_stack 0
		.amdhsa_system_sgpr_private_segment_wavefront_offset 0
		.amdhsa_system_sgpr_workgroup_id_x 1
		.amdhsa_system_sgpr_workgroup_id_y 0
		.amdhsa_system_sgpr_workgroup_id_z 0
		.amdhsa_system_sgpr_workgroup_info 0
		.amdhsa_system_vgpr_workitem_id 0
		.amdhsa_next_free_vgpr 31
		.amdhsa_next_free_sgpr 66
		.amdhsa_accum_offset 32
		.amdhsa_reserve_vcc 1
		.amdhsa_reserve_flat_scratch 0
		.amdhsa_float_round_mode_32 0
		.amdhsa_float_round_mode_16_64 0
		.amdhsa_float_denorm_mode_32 3
		.amdhsa_float_denorm_mode_16_64 3
		.amdhsa_dx10_clamp 1
		.amdhsa_ieee_mode 1
		.amdhsa_fp16_overflow 0
		.amdhsa_tg_split 0
		.amdhsa_exception_fp_ieee_invalid_op 0
		.amdhsa_exception_fp_denorm_src 0
		.amdhsa_exception_fp_ieee_div_zero 0
		.amdhsa_exception_fp_ieee_overflow 0
		.amdhsa_exception_fp_ieee_underflow 0
		.amdhsa_exception_fp_ieee_inexact 0
		.amdhsa_exception_int_div_zero 0
	.end_amdhsa_kernel
	.section	.text._ZN5aiter22opus_moe_sorting_entryINS_16MoeSortingKernelINS_19MoeSortingProblemExIifLi4ELb0ELb0ELb1ELb1ELi0EEEEENS4_5KargsEEEvT0_,"axG",@progbits,_ZN5aiter22opus_moe_sorting_entryINS_16MoeSortingKernelINS_19MoeSortingProblemExIifLi4ELb0ELb0ELb1ELb1ELi0EEEEENS4_5KargsEEEvT0_,comdat
.Lfunc_end26:
	.size	_ZN5aiter22opus_moe_sorting_entryINS_16MoeSortingKernelINS_19MoeSortingProblemExIifLi4ELb0ELb0ELb1ELb1ELi0EEEEENS4_5KargsEEEvT0_, .Lfunc_end26-_ZN5aiter22opus_moe_sorting_entryINS_16MoeSortingKernelINS_19MoeSortingProblemExIifLi4ELb0ELb0ELb1ELb1ELi0EEEEENS4_5KargsEEEvT0_
                                        ; -- End function
	.section	.AMDGPU.csdata,"",@progbits
; Kernel info:
; codeLenInByte = 4536
; NumSgprs: 70
; NumVgprs: 31
; NumAgprs: 0
; TotalNumVgprs: 31
; ScratchSize: 0
; MemoryBound: 0
; FloatMode: 240
; IeeeMode: 1
; LDSByteSize: 0 bytes/workgroup (compile time only)
; SGPRBlocks: 8
; VGPRBlocks: 3
; NumSGPRsForWavesPerEU: 70
; NumVGPRsForWavesPerEU: 31
; AccumOffset: 32
; Occupancy: 8
; WaveLimiterHint : 1
; COMPUTE_PGM_RSRC2:SCRATCH_EN: 0
; COMPUTE_PGM_RSRC2:USER_SGPR: 6
; COMPUTE_PGM_RSRC2:TRAP_HANDLER: 0
; COMPUTE_PGM_RSRC2:TGID_X_EN: 1
; COMPUTE_PGM_RSRC2:TGID_Y_EN: 0
; COMPUTE_PGM_RSRC2:TGID_Z_EN: 0
; COMPUTE_PGM_RSRC2:TIDIG_COMP_CNT: 0
; COMPUTE_PGM_RSRC3_GFX90A:ACCUM_OFFSET: 7
; COMPUTE_PGM_RSRC3_GFX90A:TG_SPLIT: 0
	.section	.text._ZN5aiter22opus_moe_sorting_entryINS_16MoeSortingKernelINS_19MoeSortingProblemExIifLi2ELb0ELb0ELb1ELb1ELi0EEEEENS4_5KargsEEEvT0_,"axG",@progbits,_ZN5aiter22opus_moe_sorting_entryINS_16MoeSortingKernelINS_19MoeSortingProblemExIifLi2ELb0ELb0ELb1ELb1ELi0EEEEENS4_5KargsEEEvT0_,comdat
	.protected	_ZN5aiter22opus_moe_sorting_entryINS_16MoeSortingKernelINS_19MoeSortingProblemExIifLi2ELb0ELb0ELb1ELb1ELi0EEEEENS4_5KargsEEEvT0_ ; -- Begin function _ZN5aiter22opus_moe_sorting_entryINS_16MoeSortingKernelINS_19MoeSortingProblemExIifLi2ELb0ELb0ELb1ELb1ELi0EEEEENS4_5KargsEEEvT0_
	.globl	_ZN5aiter22opus_moe_sorting_entryINS_16MoeSortingKernelINS_19MoeSortingProblemExIifLi2ELb0ELb0ELb1ELb1ELi0EEEEENS4_5KargsEEEvT0_
	.p2align	8
	.type	_ZN5aiter22opus_moe_sorting_entryINS_16MoeSortingKernelINS_19MoeSortingProblemExIifLi2ELb0ELb0ELb1ELb1ELi0EEEEENS4_5KargsEEEvT0_,@function
_ZN5aiter22opus_moe_sorting_entryINS_16MoeSortingKernelINS_19MoeSortingProblemExIifLi2ELb0ELb0ELb1ELb1ELi0EEEEENS4_5KargsEEEvT0_: ; @_ZN5aiter22opus_moe_sorting_entryINS_16MoeSortingKernelINS_19MoeSortingProblemExIifLi2ELb0ELb0ELb1ELb1ELi0EEEEENS4_5KargsEEEvT0_
; %bb.0:
	s_load_dwordx8 s[16:23], s[4:5], 0x18
	s_load_dwordx4 s[12:15], s[4:5], 0x38
	s_load_dwordx2 s[10:11], s[4:5], 0x48
	s_load_dwordx4 s[36:39], s[4:5], 0x54
	s_cmp_eq_u32 s6, 0
	s_waitcnt lgkmcnt(0)
	s_load_dword s33, s[16:17], 0x0
	s_cbranch_scc1 .LBB27_7
; %bb.1:
	s_cmp_eq_u64 s[14:15], 0
	s_mov_b64 s[2:3], 0
	s_cbranch_scc1 .LBB27_6
; %bb.2:
	s_waitcnt lgkmcnt(0)
	s_ashr_i32 s0, s33, 31
	s_mul_i32 s7, s38, s37
	s_mul_hi_i32 s1, s38, s37
	s_mul_i32 s0, s7, s0
	s_mul_hi_u32 s8, s7, s33
	s_add_i32 s0, s8, s0
	s_mul_i32 s1, s1, s33
	s_add_i32 s1, s0, s1
	s_mul_i32 s0, s7, s33
	s_ashr_i32 s7, s1, 31
	s_lshr_b32 s8, s7, 28
	s_add_u32 s0, s0, s8
	s_addc_u32 s1, s1, 0
	v_lshl_add_u32 v1, s6, 8, v0
	s_ashr_i64 s[8:9], s[0:1], 4
	v_add_u32_e32 v2, 0xffffff00, v1
	v_mov_b32_e32 v3, 0
	s_mov_b32 s7, 0
	v_cmp_gt_i64_e32 vcc, s[8:9], v[2:3]
	s_and_saveexec_b64 s[16:17], vcc
	s_cbranch_execz .LBB27_5
; %bb.3:
	s_load_dword s0, s[4:5], 0x90
	v_lshlrev_b64 v[4:5], 4, v[2:3]
	v_mov_b32_e32 v1, s15
	v_add_co_u32_e32 v8, vcc, s14, v4
	s_waitcnt lgkmcnt(0)
	s_lshl_b32 s0, s0, 8
	s_add_i32 s6, s0, 0xffffff00
	s_lshl_b64 s[14:15], s[6:7], 4
	v_pk_mov_b32 v[6:7], v[2:3], v[2:3] op_sel:[0,1]
	v_addc_co_u32_e32 v9, vcc, v1, v5, vcc
	s_mov_b64 s[24:25], 0
	v_mov_b32_e32 v2, v3
	v_mov_b32_e32 v4, v3
	;; [unrolled: 1-line block ×5, first 2 shown]
.LBB27_4:                               ; =>This Inner Loop Header: Depth=1
	v_add_co_u32_e32 v6, vcc, s6, v6
	v_addc_co_u32_e32 v7, vcc, v7, v1, vcc
	global_store_dwordx4 v[8:9], v[2:5], off
	v_add_co_u32_e32 v8, vcc, s14, v8
	v_cmp_le_i64_e64 s[0:1], s[8:9], v[6:7]
	s_or_b64 s[24:25], s[0:1], s[24:25]
	v_addc_co_u32_e32 v9, vcc, v9, v10, vcc
	s_andn2_b64 exec, exec, s[24:25]
	s_cbranch_execnz .LBB27_4
.LBB27_5:
	s_or_b64 exec, exec, s[16:17]
.LBB27_6:
	s_andn2_b64 vcc, exec, s[2:3]
	s_cbranch_vccz .LBB27_8
	s_branch .LBB27_99
.LBB27_7:
.LBB27_8:
	s_load_dwordx8 s[24:31], s[4:5], 0x64
	s_load_dwordx4 s[40:43], s[4:5], 0x0
	s_load_dwordx2 s[34:35], s[4:5], 0x84
	v_lshrrev_b32_e32 v1, 6, v0
	v_readfirstlane_b32 s44, v1
	s_waitcnt lgkmcnt(0)
	s_add_i32 s37, s24, -2
	s_mul_i32 s49, s37, s36
	s_add_i32 s48, s36, 1
	v_cmp_gt_i32_e64 s[0:1], s49, v0
	v_xad_u32 v8, v0, -1, s49
	s_and_saveexec_b64 s[2:3], s[0:1]
	s_cbranch_execz .LBB27_18
; %bb.9:
	s_movk_i32 s6, 0xff
	s_mov_b32 s5, 0
	s_mov_b32 s4, s34
	s_sub_i32 s14, s48, s31
	v_cmp_lt_u32_e32 vcc, s6, v8
	s_mov_b64 s[8:9], 0
                                        ; implicit-def: $vgpr1
                                        ; implicit-def: $sgpr15
	s_and_saveexec_b64 s[6:7], vcc
	s_xor_b64 s[6:7], exec, s[6:7]
	s_cbranch_execnz .LBB27_12
; %bb.10:
	s_or_saveexec_b64 s[6:7], s[6:7]
	v_mov_b32_e32 v2, s15
	s_xor_b64 exec, exec, s[6:7]
	s_cbranch_execnz .LBB27_15
.LBB27_11:
	s_or_b64 exec, exec, s[6:7]
	s_and_b64 exec, exec, s[8:9]
	s_cbranch_execnz .LBB27_16
	s_branch .LBB27_18
.LBB27_12:
	v_lshrrev_b32_e32 v1, 8, v8
	v_add_u32_e32 v4, 1, v1
	s_lshl_b32 s15, s36, 3
	v_and_b32_e32 v5, 0x1fffffe, v4
	v_add_u32_e32 v1, 0x100, v0
	s_add_i32 s8, s15, 0
	s_mov_b32 s16, s4
	s_mov_b32 s17, s35
	;; [unrolled: 1-line block ×4, first 2 shown]
	v_lshl_add_u32 v6, v0, 2, s8
	s_mov_b64 s[8:9], 0
	v_mov_b32_e32 v7, 0
	v_mov_b32_e32 v9, v5
	v_pk_mov_b32 v[2:3], v[0:1], v[0:1] op_sel:[0,1]
.LBB27_13:                              ; =>This Inner Loop Header: Depth=1
	v_mul_hi_u32 v1, s4, v2
	v_mul_hi_u32 v10, s16, v3
	v_add_u32_e32 v10, v3, v10
	v_add_u32_e32 v1, v2, v1
	v_add_u32_e32 v9, -2, v9
	v_lshrrev_b32_e32 v1, s17, v1
	v_lshrrev_b32_e32 v10, s38, v10
	v_cmp_eq_u32_e32 vcc, 0, v9
	v_mul_lo_u32 v10, v10, s39
	v_mul_lo_u32 v1, v1, s14
	v_add_u32_e32 v3, 0x200, v3
	v_add_u32_e32 v2, 0x200, v2
	s_or_b64 s[8:9], vcc, s[8:9]
	v_lshl_add_u32 v1, v1, 2, v6
	v_lshl_add_u32 v10, v10, 2, v6
	v_add_u32_e32 v6, 0x800, v6
	ds_write_b32 v1, v7 offset:8
	ds_write_b32 v10, v7 offset:1032
	s_andn2_b64 exec, exec, s[8:9]
	s_cbranch_execnz .LBB27_13
; %bb.14:
	s_or_b64 exec, exec, s[8:9]
	v_cmp_ne_u32_e32 vcc, v4, v5
	v_lshl_add_u32 v1, v5, 8, v0
	s_and_b64 s[8:9], vcc, exec
	s_or_saveexec_b64 s[6:7], s[6:7]
	v_mov_b32_e32 v2, s15
	s_xor_b64 exec, exec, s[6:7]
	s_cbranch_execz .LBB27_11
.LBB27_15:
	s_lshl_b32 s15, s36, 3
	v_mov_b32_e32 v2, s15
	s_or_b64 s[8:9], s[8:9], exec
	v_mov_b32_e32 v1, v0
	s_or_b64 exec, exec, s[6:7]
	s_and_b64 exec, exec, s[8:9]
	s_cbranch_execz .LBB27_18
.LBB27_16:
	v_lshl_add_u32 v2, v1, 2, v2
	v_mad_u64_u32 v[4:5], s[6:7], v1, s4, 0
	s_lshl_b64 s[4:5], s[4:5], 8
	s_lshl_b32 s8, s14, 2
	v_add3_u32 v2, v2, 0, 8
	s_mov_b64 s[6:7], 0
	v_mov_b32_e32 v3, 0
	v_mov_b32_e32 v6, s5
.LBB27_17:                              ; =>This Inner Loop Header: Depth=1
	v_add_co_u32_e32 v4, vcc, s4, v4
	v_add_u32_e32 v7, v1, v5
	v_add_u32_e32 v1, 0x100, v1
	v_addc_co_u32_e32 v5, vcc, v5, v6, vcc
	v_lshrrev_b32_e32 v7, s35, v7
	v_cmp_le_i32_e32 vcc, s49, v1
	v_mad_u64_u32 v[10:11], s[14:15], s8, v7, v[2:3]
	v_add_u32_e32 v2, 0x400, v2
	s_or_b64 s[6:7], vcc, s[6:7]
	ds_write_b32 v10, v3
	s_andn2_b64 exec, exec, s[6:7]
	s_cbranch_execnz .LBB27_17
.LBB27_18:
	s_or_b64 exec, exec, s[2:3]
	s_lshl_b32 s2, s48, 3
	s_add_i32 s50, s2, 0
	s_cmp_gt_i32 s33, 0
	s_mul_i32 s51, s28, s37
	s_mov_b32 s5, 0
	s_cselect_b64 s[14:15], -1, 0
	s_cmp_lt_i32 s33, 1
	v_cmp_gt_i32_e32 vcc, s51, v0
	s_waitcnt lgkmcnt(0)
	s_barrier
	s_cbranch_scc1 .LBB27_26
; %bb.19:
	s_mov_b32 s4, s29
	v_mad_u64_u32 v[2:3], s[2:3], v0, s29, 0
	s_lshl_b64 s[6:7], s[4:5], 8
	v_mov_b32_e32 v5, 0
	s_mov_b32 s4, 0
	s_branch .LBB27_21
.LBB27_20:                              ;   in Loop: Header=BB27_21 Depth=1
	s_or_b64 exec, exec, s[8:9]
	s_add_i32 s4, s4, s37
	s_add_i32 s5, s5, s51
	s_cmp_ge_i32 s4, s33
	s_barrier
	s_cbranch_scc1 .LBB27_26
.LBB27_21:                              ; =>This Loop Header: Depth=1
                                        ;     Child Loop BB27_24 Depth 2
	s_and_saveexec_b64 s[8:9], vcc
	s_cbranch_execz .LBB27_20
; %bb.22:                               ;   in Loop: Header=BB27_21 Depth=1
	s_mov_b64 s[16:17], 0
	v_pk_mov_b32 v[6:7], v[2:3], v[2:3] op_sel:[0,1]
	v_mov_b32_e32 v1, v0
	s_branch .LBB27_24
.LBB27_23:                              ;   in Loop: Header=BB27_24 Depth=2
	s_or_b64 exec, exec, s[38:39]
	v_add_u32_e32 v1, 0x100, v1
	v_cmp_le_i32_e64 s[2:3], s51, v1
	v_mov_b32_e32 v4, s7
	s_or_b64 s[16:17], s[2:3], s[16:17]
	v_add_co_u32_e64 v6, s[2:3], s6, v6
	v_addc_co_u32_e64 v7, s[2:3], v7, v4, s[2:3]
	s_waitcnt lgkmcnt(0)
	s_andn2_b64 exec, exec, s[16:17]
	s_cbranch_execz .LBB27_20
.LBB27_24:                              ;   Parent Loop BB27_21 Depth=1
                                        ; =>  This Inner Loop Header: Depth=2
	v_add_u32_e32 v4, v1, v7
	v_lshrrev_b32_e32 v9, s30, v4
	v_add_u32_e32 v4, s4, v9
	v_cmp_gt_i32_e64 s[2:3], s33, v4
	s_and_saveexec_b64 s[38:39], s[2:3]
	s_cbranch_execz .LBB27_23
; %bb.25:                               ;   in Loop: Header=BB27_24 Depth=2
	v_add_u32_e32 v4, s5, v1
	v_lshlrev_b64 v[10:11], 2, v[4:5]
	v_mov_b32_e32 v4, s41
	v_add_co_u32_e64 v10, s[2:3], s40, v10
	v_addc_co_u32_e64 v11, s[2:3], v4, v11, s[2:3]
	global_load_dword v4, v[10:11], off
	v_mul_lo_u32 v9, v9, s48
	v_lshlrev_b32_e32 v9, 2, v9
	s_waitcnt vmcnt(0)
	v_lshlrev_b32_e32 v4, 2, v4
	v_add3_u32 v4, s50, v4, v9
	ds_read_b32 v9, v4
	s_waitcnt lgkmcnt(0)
	v_add_u32_e32 v9, 1, v9
	ds_write_b32 v4, v9
	s_branch .LBB27_23
.LBB27_26:
	v_cmp_eq_u32_e32 vcc, 0, v0
	s_and_saveexec_b64 s[2:3], vcc
	s_cbranch_execz .LBB27_28
; %bb.27:
	v_mov_b32_e32 v1, 0
	ds_write_b32 v1, v1
.LBB27_28:
	s_or_b64 exec, exec, s[2:3]
	v_mbcnt_lo_u32_b32 v1, -1, 0
	v_and_b32_e32 v15, 7, v0
	v_mbcnt_hi_u32_b32 v11, -1, v1
	v_lshrrev_b32_e32 v14, 3, v0
	v_mul_lo_u32 v1, s48, v15
	v_cmp_gt_i32_e64 s[2:3], s36, v14
	v_lshlrev_b32_e32 v9, 2, v1
	v_lshlrev_b32_e32 v10, 2, v14
	s_and_saveexec_b64 s[8:9], s[2:3]
	s_cbranch_execz .LBB27_36
; %bb.29:
	s_cmp_gt_i32 s24, 2
	s_mul_i32 s6, s36, 40
	v_add3_u32 v4, v9, s6, v10
	s_cselect_b64 s[6:7], -1, 0
	s_lshl_b32 s16, s36, 3
	v_lshlrev_b32_e32 v3, 2, v11
	s_lshl_b32 s24, s36, 6
	v_add3_u32 v5, v9, s16, v10
	v_cndmask_b32_e64 v6, 0, 1, s[6:7]
	v_xor_b32_e32 v1, 4, v3
	v_xor_b32_e32 v2, 8, v3
	;; [unrolled: 1-line block ×3, first 2 shown]
	v_cmp_eq_u32_e64 s[4:5], 0, v15
	v_add3_u32 v4, v4, 0, 40
	s_add_i32 s24, s24, 64
	v_add3_u32 v5, v5, 0, 8
	s_mov_b64 s[16:17], 0
	v_cmp_ne_u32_e64 s[6:7], 1, v6
	v_mov_b32_e32 v6, v14
	s_branch .LBB27_31
.LBB27_30:                              ;   in Loop: Header=BB27_31 Depth=1
	s_or_b64 exec, exec, s[38:39]
	v_add_u32_e32 v6, 32, v6
	v_cmp_le_i32_e32 vcc, s36, v6
	v_add_u32_e32 v4, 0x80, v4
	s_or_b64 s[16:17], vcc, s[16:17]
	v_add_u32_e32 v5, 0x80, v5
	s_andn2_b64 exec, exec, s[16:17]
	s_cbranch_execz .LBB27_36
.LBB27_31:                              ; =>This Loop Header: Depth=1
                                        ;     Child Loop BB27_33 Depth 2
	s_and_b64 vcc, exec, s[6:7]
	v_mov_b32_e32 v7, 0
	s_cbranch_vccnz .LBB27_34
; %bb.32:                               ;   in Loop: Header=BB27_31 Depth=1
	s_mov_b32 s38, 0
	v_mov_b32_e32 v7, 0
	s_mov_b32 s39, 0
.LBB27_33:                              ;   Parent Loop BB27_31 Depth=1
                                        ; =>  This Inner Loop Header: Depth=2
	v_add_u32_e32 v12, s38, v5
	v_add_u32_e32 v13, s38, v4
	ds_read_b32 v12, v12
	ds_read_b32 v13, v13
	s_add_i32 s39, s39, 16
	s_add_i32 s38, s38, s24
	s_cmp_lt_i32 s39, s37
	s_waitcnt lgkmcnt(1)
	ds_bpermute_b32 v16, v1, v12
	s_waitcnt lgkmcnt(1)
	ds_bpermute_b32 v17, v1, v13
	s_waitcnt lgkmcnt(1)
	v_add_u32_e32 v12, v16, v12
	s_waitcnt lgkmcnt(0)
	v_add_u32_e32 v13, v17, v13
	ds_bpermute_b32 v16, v2, v12
	ds_bpermute_b32 v17, v2, v13
	s_waitcnt lgkmcnt(1)
	v_add_u32_e32 v12, v16, v12
	s_waitcnt lgkmcnt(0)
	v_add_u32_e32 v13, v17, v13
	ds_bpermute_b32 v16, v3, v12
	ds_bpermute_b32 v17, v3, v13
	s_waitcnt lgkmcnt(1)
	v_add3_u32 v7, v12, v7, v16
	s_waitcnt lgkmcnt(0)
	v_add3_u32 v7, v7, v13, v17
	s_cbranch_scc1 .LBB27_33
.LBB27_34:                              ;   in Loop: Header=BB27_31 Depth=1
	s_and_saveexec_b64 s[38:39], s[4:5]
	s_cbranch_execz .LBB27_30
; %bb.35:                               ;   in Loop: Header=BB27_31 Depth=1
	v_lshl_add_u32 v12, v6, 2, 0
	ds_write_b32 v12, v7 offset:4
	s_branch .LBB27_30
.LBB27_36:
	s_or_b64 exec, exec, s[8:9]
	s_cmp_lg_u32 s44, 0
	s_mov_b32 s24, 0
	s_waitcnt lgkmcnt(0)
	s_barrier
	s_cbranch_scc1 .LBB27_45
; %bb.37:
	s_cmp_lt_i32 s36, 1
	v_mov_b32_e32 v2, 0
	s_cbranch_scc1 .LBB27_42
; %bb.38:
	v_lshlrev_b32_e32 v2, 2, v11
	v_and_b32_e32 v3, 0xc0, v2
	v_cmp_eq_u32_e32 vcc, 0, v11
	s_add_i32 s38, s25, -1
	v_add_u32_e32 v1, -4, v3
	v_cmp_lt_u32_e64 s[4:5], 15, v11
	v_add_u32_e32 v3, 0xffffffbc, v3
	v_cmp_lt_u32_e64 s[6:7], 31, v11
	v_add3_u32 v4, v2, 0, 4
	s_branch .LBB27_40
.LBB27_39:                              ;   in Loop: Header=BB27_40 Depth=1
	s_or_b64 exec, exec, s[16:17]
	s_add_i32 s24, s24, 64
	s_cmp_lt_i32 s24, s36
	v_add_u32_e32 v4, 0x100, v4
	s_waitcnt lgkmcnt(0)
	s_cbranch_scc0 .LBB27_42
.LBB27_40:                              ; =>This Inner Loop Header: Depth=1
	ds_read_b32 v5, v4
	v_mov_b32_e32 v2, s24
	v_cndmask_b32_e32 v2, 0, v2, vcc
	v_lshl_add_u32 v2, v2, 2, 0
	ds_read_b32 v2, v2
	s_waitcnt lgkmcnt(1)
	v_add_u32_e32 v5, s38, v5
	v_mul_hi_u32 v6, v5, s26
	v_add_u32_e32 v5, v5, v6
	v_lshrrev_b32_e32 v5, s27, v5
	s_waitcnt lgkmcnt(0)
	v_mad_u64_u32 v[6:7], s[8:9], v5, s25, v[2:3]
	s_nop 1
	v_add_u32_dpp v2, v6, v6 row_shr:1 row_mask:0xf bank_mask:0xf bound_ctrl:1
	v_add_u32_e32 v6, s24, v11
	v_cmp_gt_i32_e64 s[8:9], s36, v6
	v_add_u32_dpp v2, v2, v2 row_shr:2 row_mask:0xf bank_mask:0xf bound_ctrl:1
	s_nop 1
	v_add_u32_dpp v2, v2, v2 row_shr:4 row_mask:0xf bank_mask:0xf bound_ctrl:1
	s_nop 1
	v_add_u32_dpp v2, v2, v2 row_shr:8 row_mask:0xf bank_mask:0xf bound_ctrl:1
	ds_bpermute_b32 v5, v1, v2
	s_waitcnt lgkmcnt(0)
	v_cndmask_b32_e64 v5, 0, v5, s[4:5]
	v_add_u32_e32 v2, v2, v5
	ds_bpermute_b32 v5, v3, v2
	s_waitcnt lgkmcnt(0)
	v_cndmask_b32_e64 v5, 0, v5, s[6:7]
	v_add_u32_e32 v2, v2, v5
	s_and_saveexec_b64 s[16:17], s[8:9]
	s_cbranch_execz .LBB27_39
; %bb.41:                               ;   in Loop: Header=BB27_40 Depth=1
	ds_write_b32 v4, v2
	s_branch .LBB27_39
.LBB27_42:
	v_add_u32_e32 v1, s24, v11
	v_subrev_u32_e32 v1, 63, v1
	v_cmp_eq_u32_e32 vcc, s36, v1
	s_and_saveexec_b64 s[4:5], vcc
	s_cbranch_execz .LBB27_44
; %bb.43:
	v_mov_b32_e32 v1, 0
	v_mov_b32_e32 v3, s33
	global_store_dwordx2 v1, v[2:3], s[12:13]
.LBB27_44:
	s_or_b64 exec, exec, s[4:5]
.LBB27_45:
	s_cmp_eq_u64 s[10:11], 0
	s_barrier
	s_cbranch_scc1 .LBB27_55
; %bb.46:
	s_mul_i32 s16, s33, s28
	v_cmp_gt_i32_e32 vcc, s16, v0
	s_and_saveexec_b64 s[6:7], vcc
	s_cbranch_execz .LBB27_54
; %bb.47:
	v_xad_u32 v1, v0, -1, s16
	s_movk_i32 s4, 0xff
	v_cmp_lt_u32_e32 vcc, s4, v1
	s_mov_b64 s[4:5], -1
	v_mov_b32_e32 v2, v0
	s_and_saveexec_b64 s[8:9], vcc
	s_cbranch_execz .LBB27_51
; %bb.48:
	v_lshrrev_b32_e32 v1, 8, v1
	v_add_u32_e32 v6, 1, v1
	v_and_b32_e32 v7, 0x1fffffe, v6
	v_add_u32_e32 v1, 0x100, v0
	s_mov_b64 s[12:13], 0
	v_mov_b32_e32 v12, s41
	v_mov_b32_e32 v13, s11
	;; [unrolled: 1-line block ×4, first 2 shown]
	v_pk_mov_b32 v[4:5], v[0:1], v[0:1] op_sel:[0,1]
.LBB27_49:                              ; =>This Inner Loop Header: Depth=1
	v_mov_b32_e32 v2, v4
	v_lshlrev_b64 v[18:19], 2, v[2:3]
	v_mov_b32_e32 v2, v5
	v_add_co_u32_e32 v20, vcc, s40, v18
	v_addc_co_u32_e32 v21, vcc, v12, v19, vcc
	v_lshlrev_b64 v[22:23], 2, v[2:3]
	v_add_co_u32_e32 v24, vcc, s40, v22
	v_addc_co_u32_e32 v25, vcc, v12, v23, vcc
	global_load_dword v1, v[20:21], off
	global_load_dword v2, v[24:25], off
	v_add_u32_e32 v16, -2, v16
	v_cmp_eq_u32_e32 vcc, 0, v16
	v_add_co_u32_e64 v18, s[4:5], s10, v18
	v_add_u32_e32 v4, 0x200, v4
	v_add_u32_e32 v5, 0x200, v5
	v_addc_co_u32_e64 v19, s[4:5], v13, v19, s[4:5]
	s_or_b64 s[12:13], vcc, s[12:13]
	v_add_co_u32_e32 v20, vcc, s10, v22
	v_addc_co_u32_e32 v21, vcc, v13, v23, vcc
	s_waitcnt vmcnt(1)
	global_store_dword v[18:19], v1, off
	s_waitcnt vmcnt(1)
	global_store_dword v[20:21], v2, off
	s_andn2_b64 exec, exec, s[12:13]
	s_cbranch_execnz .LBB27_49
; %bb.50:
	s_or_b64 exec, exec, s[12:13]
	v_cmp_ne_u32_e32 vcc, v6, v7
	v_lshl_add_u32 v2, v7, 8, v0
	s_orn2_b64 s[4:5], vcc, exec
.LBB27_51:
	s_or_b64 exec, exec, s[8:9]
	s_and_b64 exec, exec, s[4:5]
	s_cbranch_execz .LBB27_54
; %bb.52:
	v_mov_b32_e32 v3, 0
	v_lshlrev_b64 v[6:7], 2, v[2:3]
	v_mov_b32_e32 v1, s41
	v_add_co_u32_e32 v4, vcc, s40, v6
	v_addc_co_u32_e32 v5, vcc, v1, v7, vcc
	v_mov_b32_e32 v1, s11
	v_add_co_u32_e32 v6, vcc, s10, v6
	v_addc_co_u32_e32 v7, vcc, v1, v7, vcc
	s_mov_b64 s[4:5], 0
.LBB27_53:                              ; =>This Inner Loop Header: Depth=1
	global_load_dword v1, v[4:5], off
	v_add_co_u32_e32 v4, vcc, 0x400, v4
	v_add_u32_e32 v2, 0x100, v2
	v_addc_co_u32_e32 v5, vcc, 0, v5, vcc
	v_cmp_le_i32_e32 vcc, s16, v2
	s_or_b64 s[4:5], vcc, s[4:5]
	s_waitcnt vmcnt(0)
	global_store_dword v[6:7], v1, off
	v_add_co_u32_e32 v6, vcc, 0x400, v6
	v_addc_co_u32_e32 v7, vcc, 0, v7, vcc
	s_andn2_b64 exec, exec, s[4:5]
	s_cbranch_execnz .LBB27_53
.LBB27_54:
	s_or_b64 exec, exec, s[6:7]
	s_barrier
.LBB27_55:
	s_lshl_b32 s16, s36, 2
	s_add_i32 s17, s16, 0
	s_add_i32 s52, s17, 4
	v_cmp_gt_i32_e64 s[4:5], s36, v0
	s_and_saveexec_b64 s[6:7], s[4:5]
	s_cbranch_execz .LBB27_61
; %bb.56:
	s_mov_b64 s[8:9], 0
	v_mov_b32_e32 v3, 0
	v_mov_b32_e32 v1, v0
	s_branch .LBB27_58
.LBB27_57:                              ;   in Loop: Header=BB27_58 Depth=1
	s_or_b64 exec, exec, s[10:11]
	v_add_u32_e32 v1, 0x100, v1
	v_cmp_le_i32_e32 vcc, s36, v1
	s_or_b64 s[8:9], vcc, s[8:9]
	s_andn2_b64 exec, exec, s[8:9]
	s_cbranch_execz .LBB27_61
.LBB27_58:                              ; =>This Loop Header: Depth=1
                                        ;     Child Loop BB27_60 Depth 2
	v_lshlrev_b32_e32 v2, 2, v1
	v_add_u32_e32 v4, 0, v2
	ds_read2_b32 v[4:5], v4 offset1:1
	v_add_u32_e32 v2, s52, v2
	s_waitcnt lgkmcnt(0)
	v_cmp_lt_i32_e32 vcc, v4, v5
	ds_write_b32 v2, v4
	s_and_saveexec_b64 s[10:11], vcc
	s_cbranch_execz .LBB27_57
; %bb.59:                               ;   in Loop: Header=BB27_58 Depth=1
	s_mov_b64 s[12:13], 0
.LBB27_60:                              ;   Parent Loop BB27_58 Depth=1
                                        ; =>  This Inner Loop Header: Depth=2
	v_mul_hi_u32 v2, s26, v4
	v_add_u32_e32 v2, v4, v2
	v_add_u32_e32 v4, s25, v4
	v_lshrrev_b32_e32 v2, s27, v2
	v_cmp_ge_i32_e32 vcc, v4, v5
	v_lshlrev_b64 v[6:7], 2, v[2:3]
	v_mov_b32_e32 v12, s23
	s_or_b64 s[12:13], vcc, s[12:13]
	v_add_co_u32_e32 v6, vcc, s22, v6
	v_addc_co_u32_e32 v7, vcc, v12, v7, vcc
	global_store_dword v[6:7], v1, off
	s_andn2_b64 exec, exec, s[12:13]
	s_cbranch_execnz .LBB27_60
	s_branch .LBB27_57
.LBB27_61:
	s_or_b64 exec, exec, s[6:7]
	v_mov_b32_e32 v1, s17
	s_waitcnt lgkmcnt(0)
	s_barrier
	ds_read_b32 v1, v1
	s_add_i32 s6, s17, s16
	v_mov_b32_e32 v2, s6
	s_andn2_b64 vcc, exec, s[14:15]
	s_waitcnt lgkmcnt(0)
	ds_write_b32 v2, v1 offset:4
	s_cbranch_vccnz .LBB27_88
; %bb.62:
	s_sub_i32 s31, s48, s31
	s_add_u32 s55, s18, -4
	s_addc_u32 s56, s19, -1
	v_and_b32_e32 v1, 8, v11
	s_add_u32 s57, s42, -4
	v_cmp_eq_u32_e64 s[8:9], 0, v1
	v_lshrrev_b32_e32 v1, 8, v8
	s_addc_u32 s58, s43, -1
	v_add_u32_e32 v3, 1, v1
	s_add_u32 s59, s20, -4
	s_mov_b32 s23, 0
	s_movk_i32 s10, 0xff
	v_and_b32_e32 v18, 0x1fffffe, v3
	s_addc_u32 s60, s21, -1
	s_lshl_b32 s38, s36, 3
	s_mov_b32 s22, s34
	s_mov_b32 s14, s29
	;; [unrolled: 1-line block ×3, first 2 shown]
	v_lshlrev_b32_e32 v16, 2, v0
	v_cmp_lt_u32_e64 s[10:11], s10, v8
	v_lshl_add_u32 v2, v18, 8, v0
	v_cmp_ne_u32_e64 s[12:13], v3, v18
	s_add_i32 s16, s38, 0
	v_mov_b32_e32 v3, 0
	v_add3_u32 v8, v9, s38, v10
	s_lshl_b32 s63, s36, 5
	v_cmp_gt_i32_e32 vcc, s51, v0
	v_cmp_gt_i32_e64 s[6:7], s37, v15
	v_or_b32_e32 v17, 28, v16
	v_add_u32_e32 v1, 0x100, v0
	s_mov_b32 s53, s35
	s_mov_b32 s54, s31
	v_add_u32_e32 v19, s16, v16
	s_lshl_b32 s61, s31, 2
	s_lshl_b64 s[24:25], s[22:23], 8
	s_sub_i32 s62, 0, s28
	v_mov_b32_e32 v4, v0
	v_mov_b32_e32 v5, v3
	v_mad_u64_u32 v[6:7], s[16:17], v0, s29, 0
	s_lshl_b64 s[26:27], s[14:15], 8
	v_mul_lo_u32 v20, s28, v15
	s_lshl_b32 s29, s28, 3
	v_add3_u32 v21, v8, 0, 8
	s_add_i32 s63, s63, 32
	v_lshlrev_b32_e32 v22, 2, v2
	s_mov_b32 s64, 0x4020100
	s_mov_b32 s65, s23
	s_branch .LBB27_64
.LBB27_63:                              ;   in Loop: Header=BB27_64 Depth=1
	s_or_b64 exec, exec, s[38:39]
	s_add_i32 s65, s65, s37
	s_add_i32 s23, s23, s51
	s_cmp_ge_i32 s65, s33
	v_add_u32_e32 v20, s51, v20
	s_waitcnt lgkmcnt(0)
	s_barrier
	s_cbranch_scc1 .LBB27_88
.LBB27_64:                              ; =>This Loop Header: Depth=1
                                        ;     Child Loop BB27_67 Depth 2
                                        ;     Child Loop BB27_73 Depth 2
	;; [unrolled: 1-line block ×4, first 2 shown]
                                        ;       Child Loop BB27_86 Depth 3
	s_and_saveexec_b64 s[16:17], s[0:1]
	s_cbranch_execz .LBB27_74
; %bb.65:                               ;   in Loop: Header=BB27_64 Depth=1
	s_mov_b64 s[14:15], -1
	v_mov_b32_e32 v23, v0
	v_mov_b32_e32 v8, v16
	v_pk_mov_b32 v[12:13], v[4:5], v[4:5] op_sel:[0,1]
	s_and_saveexec_b64 s[38:39], s[10:11]
	s_cbranch_execz .LBB27_71
; %bb.66:                               ;   in Loop: Header=BB27_64 Depth=1
	s_mov_b64 s[42:43], 0
	v_mov_b32_e32 v10, v18
	v_mov_b32_e32 v11, v19
	v_pk_mov_b32 v[8:9], v[0:1], v[0:1] op_sel:[0,1]
.LBB27_67:                              ;   Parent Loop BB27_64 Depth=1
                                        ; =>  This Inner Loop Header: Depth=2
	v_mul_hi_u32 v12, s22, v8
	v_mul_hi_u32 v13, s34, v9
	v_add_u32_e32 v13, v9, v13
	v_add_u32_e32 v12, v8, v12
	v_add_u32_e32 v10, -2, v10
	v_lshrrev_b32_e32 v12, s53, v12
	v_lshrrev_b32_e32 v13, s35, v13
	v_cmp_eq_u32_e64 s[14:15], 0, v10
	v_mul_lo_u32 v13, v13, s54
	v_mul_lo_u32 v12, v12, s31
	v_add_u32_e32 v9, 0x200, v9
	v_add_u32_e32 v8, 0x200, v8
	s_or_b64 s[42:43], s[14:15], s[42:43]
	v_lshl_add_u32 v12, v12, 2, v11
	v_lshl_add_u32 v13, v13, 2, v11
	v_add_u32_e32 v11, 0x800, v11
	ds_write_b32 v12, v3 offset:8
	ds_write_b32 v13, v3 offset:1032
	s_andn2_b64 exec, exec, s[42:43]
	s_cbranch_execnz .LBB27_67
; %bb.68:                               ;   in Loop: Header=BB27_64 Depth=1
	s_or_b64 exec, exec, s[42:43]
	s_mov_b64 s[14:15], 0
                                        ; implicit-def: $vgpr12_vgpr13
	s_and_saveexec_b64 s[42:43], s[12:13]
	s_xor_b64 s[42:43], exec, s[42:43]
; %bb.69:                               ;   in Loop: Header=BB27_64 Depth=1
	s_mov_b64 s[14:15], exec
	v_pk_mov_b32 v[12:13], v[2:3], v[2:3] op_sel:[0,1]
; %bb.70:                               ;   in Loop: Header=BB27_64 Depth=1
	s_or_b64 exec, exec, s[42:43]
	s_orn2_b64 s[14:15], s[14:15], exec
	v_mov_b32_e32 v23, v2
	v_mov_b32_e32 v8, v22
.LBB27_71:                              ;   in Loop: Header=BB27_64 Depth=1
	s_or_b64 exec, exec, s[38:39]
	s_and_b64 exec, exec, s[14:15]
	s_cbranch_execz .LBB27_74
; %bb.72:                               ;   in Loop: Header=BB27_64 Depth=1
	v_mad_u64_u32 v[10:11], s[14:15], s22, v12, 0
	v_mov_b32_e32 v12, v11
	v_mad_u64_u32 v[12:13], s[14:15], s22, v13, v[12:13]
	v_add_u32_e32 v8, s50, v8
	v_mov_b32_e32 v9, v12
	s_mov_b64 s[38:39], 0
.LBB27_73:                              ;   Parent Loop BB27_64 Depth=1
                                        ; =>  This Inner Loop Header: Depth=2
	v_mov_b32_e32 v12, s25
	v_add_co_u32_e64 v10, s[14:15], s24, v10
	v_add_u32_e32 v11, v23, v9
	v_add_u32_e32 v23, 0x100, v23
	v_addc_co_u32_e64 v9, s[14:15], v9, v12, s[14:15]
	v_lshrrev_b32_e32 v11, s35, v11
	v_cmp_le_i32_e64 s[14:15], s49, v23
	v_mad_u64_u32 v[12:13], s[42:43], s61, v11, v[8:9]
	v_add_u32_e32 v8, 0x400, v8
	s_or_b64 s[38:39], s[14:15], s[38:39]
	ds_write_b32 v12, v3
	s_andn2_b64 exec, exec, s[38:39]
	s_cbranch_execnz .LBB27_73
.LBB27_74:                              ;   in Loop: Header=BB27_64 Depth=1
	s_or_b64 exec, exec, s[16:17]
	s_waitcnt lgkmcnt(0)
	s_barrier
	s_and_saveexec_b64 s[16:17], vcc
	s_cbranch_execz .LBB27_79
; %bb.75:                               ;   in Loop: Header=BB27_64 Depth=1
	s_mov_b64 s[38:39], 0
	v_pk_mov_b32 v[8:9], v[6:7], v[6:7] op_sel:[0,1]
	v_mov_b32_e32 v10, v0
	s_branch .LBB27_77
.LBB27_76:                              ;   in Loop: Header=BB27_77 Depth=2
	s_or_b64 exec, exec, s[42:43]
	v_add_u32_e32 v10, 0x100, v10
	v_cmp_le_i32_e64 s[14:15], s51, v10
	v_mov_b32_e32 v11, s27
	s_or_b64 s[38:39], s[14:15], s[38:39]
	v_add_co_u32_e64 v8, s[14:15], s26, v8
	v_addc_co_u32_e64 v9, s[14:15], v9, v11, s[14:15]
	s_andn2_b64 exec, exec, s[38:39]
	s_cbranch_execz .LBB27_79
.LBB27_77:                              ;   Parent Loop BB27_64 Depth=1
                                        ; =>  This Inner Loop Header: Depth=2
	v_add_u32_e32 v11, v10, v9
	v_lshrrev_b32_e32 v11, s30, v11
	v_add_u32_e32 v12, s65, v11
	v_cmp_gt_i32_e64 s[14:15], s33, v12
	s_and_saveexec_b64 s[42:43], s[14:15]
	s_cbranch_execz .LBB27_76
; %bb.78:                               ;   in Loop: Header=BB27_77 Depth=2
	v_add_u32_e32 v12, s23, v10
	v_ashrrev_i32_e32 v13, 31, v12
	v_lshlrev_b64 v[12:13], 2, v[12:13]
	v_mov_b32_e32 v23, s41
	v_add_co_u32_e64 v12, s[14:15], s40, v12
	v_addc_co_u32_e64 v13, s[14:15], v23, v13, s[14:15]
	global_load_dword v12, v[12:13], off
	v_mul_lo_u32 v13, s62, v11
	v_mul_lo_u32 v11, v11, s48
	v_lshlrev_b32_e32 v11, 2, v11
	v_add3_u32 v13, v10, v13, 1
	s_waitcnt vmcnt(0)
	v_lshlrev_b32_e32 v12, 2, v12
	v_add3_u32 v11, s50, v12, v11
	ds_write_b32 v11, v13
	s_branch .LBB27_76
.LBB27_79:                              ;   in Loop: Header=BB27_64 Depth=1
	s_or_b64 exec, exec, s[16:17]
	s_waitcnt lgkmcnt(0)
	s_barrier
	s_and_saveexec_b64 s[38:39], s[2:3]
	s_cbranch_execz .LBB27_63
; %bb.80:                               ;   in Loop: Header=BB27_64 Depth=1
	s_mov_b64 s[42:43], 0
	v_mov_b32_e32 v8, v21
	v_mov_b32_e32 v9, v14
	s_branch .LBB27_83
.LBB27_81:                              ;   in Loop: Header=BB27_83 Depth=2
	s_or_b64 exec, exec, s[46:47]
.LBB27_82:                              ;   in Loop: Header=BB27_83 Depth=2
	s_or_b64 exec, exec, s[44:45]
	v_add_u32_e32 v9, 32, v9
	v_cmp_le_i32_e64 s[14:15], s36, v9
	s_or_b64 s[42:43], s[14:15], s[42:43]
	v_add_u32_e32 v8, 0x80, v8
	s_waitcnt lgkmcnt(0)
	ds_write_b32 v10, v11
	s_andn2_b64 exec, exec, s[42:43]
	s_cbranch_execz .LBB27_63
.LBB27_83:                              ;   Parent Loop BB27_64 Depth=1
                                        ; =>  This Loop Header: Depth=2
                                        ;       Child Loop BB27_86 Depth 3
	v_lshl_add_u32 v10, v9, 2, 0
	ds_read_b32 v11, v10
	s_and_saveexec_b64 s[44:45], s[6:7]
	s_cbranch_execz .LBB27_82
; %bb.84:                               ;   in Loop: Header=BB27_83 Depth=2
	s_mov_b64 s[46:47], 0
	v_mov_b32_e32 v12, v8
	v_mov_b32_e32 v13, v20
	;; [unrolled: 1-line block ×3, first 2 shown]
	s_branch .LBB27_86
.LBB27_85:                              ;   in Loop: Header=BB27_86 Depth=3
	s_or_b64 exec, exec, s[16:17]
	ds_bpermute_b32 v24, v17, v24
	v_add_u32_e32 v23, 8, v23
	v_cmp_le_i32_e64 s[14:15], s37, v23
	v_add_u32_e32 v13, s29, v13
	s_or_b64 s[46:47], s[14:15], s[46:47]
	s_waitcnt lgkmcnt(0)
	v_add_u32_e32 v11, v24, v11
	v_add_u32_e32 v12, s63, v12
	s_andn2_b64 exec, exec, s[46:47]
	s_cbranch_execz .LBB27_81
.LBB27_86:                              ;   Parent Loop BB27_64 Depth=1
                                        ;     Parent Loop BB27_83 Depth=2
                                        ; =>    This Inner Loop Header: Depth=3
	ds_read_b32 v25, v12
	s_waitcnt lgkmcnt(0)
	v_cmp_ne_u32_e64 s[14:15], 0, v25
	v_cndmask_b32_e64 v24, 0, 1, s[14:15]
	s_nop 1
	v_mov_b32_dpp v24, v24 row_shr:1 row_mask:0xf bank_mask:0xf bound_ctrl:1
	v_addc_co_u32_e64 v26, s[16:17], 0, v24, s[14:15]
	s_nop 1
	v_mov_b32_dpp v26, v26 row_shr:2 row_mask:0xf bank_mask:0xf bound_ctrl:1
	v_addc_co_u32_e64 v24, s[16:17], v26, v24, s[14:15]
	s_nop 1
	v_add_u32_dpp v24, v24, v24 row_shr:4 row_mask:0xf bank_mask:0xf bound_ctrl:1
	s_nop 1
	v_add_u32_dpp v24, v24, v24 row_shr:8 row_mask:0xf bank_mask:0xf bound_ctrl:1
	s_nop 1
	v_mov_b32_dpp v26, v24 row_newbcast:7 row_mask:0xf bank_mask:0xf bound_ctrl:1
	v_cndmask_b32_e64 v26, v26, 0, s[8:9]
	v_sub_u32_e32 v24, v24, v26
	s_and_saveexec_b64 s[16:17], s[14:15]
	s_cbranch_execz .LBB27_85
; %bb.87:                               ;   in Loop: Header=BB27_86 Depth=3
	v_add_u32_e32 v26, v13, v25
	v_ashrrev_i32_e32 v27, 31, v26
	v_lshlrev_b64 v[26:27], 2, v[26:27]
	v_mov_b32_e32 v28, s58
	v_add_co_u32_e64 v26, s[14:15], s57, v26
	v_addc_co_u32_e64 v27, s[14:15], v28, v27, s[14:15]
	global_load_dword v30, v[26:27], off
	v_add_u32_e32 v26, s65, v23
	v_perm_b32 v25, v25, v26, s64
	v_add_u32_e32 v26, v24, v11
	v_ashrrev_i32_e32 v27, 31, v26
	v_lshlrev_b64 v[26:27], 2, v[26:27]
	v_mov_b32_e32 v29, s56
	v_add_co_u32_e64 v28, s[14:15], s55, v26
	v_add_u32_e32 v25, 0xff000000, v25
	v_addc_co_u32_e64 v29, s[14:15], v29, v27, s[14:15]
	global_store_dword v[28:29], v25, off
	v_mov_b32_e32 v25, s60
	v_add_co_u32_e64 v26, s[14:15], s59, v26
	v_addc_co_u32_e64 v27, s[14:15], v25, v27, s[14:15]
	s_waitcnt vmcnt(1)
	global_store_dword v[26:27], v30, off
	s_branch .LBB27_85
.LBB27_88:
	s_and_saveexec_b64 s[0:1], s[4:5]
	s_cbranch_execz .LBB27_99
; %bb.89:
	s_and_b32 s0, s33, 0xffffff
	s_lshl_b32 s1, s28, 24
	s_or_b32 s4, s0, s1
	s_mov_b32 s5, s4
	s_add_i32 s52, s52, 4
	s_mov_b64 s[2:3], 0
	s_mov_b32 s8, 0
	v_mov_b32_e32 v1, 0
	s_branch .LBB27_91
.LBB27_90:                              ;   in Loop: Header=BB27_91 Depth=1
	s_or_b64 exec, exec, s[12:13]
	v_add_u32_e32 v0, 0x100, v0
	v_cmp_le_i32_e32 vcc, s36, v0
	s_or_b64 s[2:3], vcc, s[2:3]
	s_andn2_b64 exec, exec, s[2:3]
	s_cbranch_execz .LBB27_99
.LBB27_91:                              ; =>This Loop Header: Depth=1
                                        ;     Child Loop BB27_94 Depth 2
                                        ;     Child Loop BB27_98 Depth 2
	v_lshlrev_b32_e32 v2, 2, v0
	v_add_u32_e32 v3, 0, v2
	v_add_u32_e32 v4, s52, v2
	ds_read_b32 v2, v3
	ds_read_b32 v8, v4
	s_waitcnt lgkmcnt(0)
	v_cmp_gt_i32_e32 vcc, v8, v2
	s_and_saveexec_b64 s[12:13], vcc
	s_cbranch_execz .LBB27_90
; %bb.92:                               ;   in Loop: Header=BB27_91 Depth=1
	v_sub_u32_e32 v3, v8, v2
	v_cmp_lt_u32_e32 vcc, 15, v3
	s_mov_b64 s[6:7], -1
	s_and_saveexec_b64 s[0:1], vcc
	s_cbranch_execz .LBB27_96
; %bb.93:                               ;   in Loop: Header=BB27_91 Depth=1
	v_and_b32_e32 v6, -16, v3
	s_mov_b64 s[14:15], 0
	v_mov_b32_e32 v4, v2
	v_mov_b32_e32 v7, v6
.LBB27_94:                              ;   Parent Loop BB27_91 Depth=1
                                        ; =>  This Inner Loop Header: Depth=2
	v_ashrrev_i32_e32 v5, 31, v4
	v_lshlrev_b64 v[14:15], 2, v[4:5]
	v_mov_b32_e32 v5, s19
	v_add_co_u32_e32 v16, vcc, s18, v14
	v_addc_co_u32_e32 v17, vcc, v5, v15, vcc
	s_mov_b32 s6, s4
	s_mov_b32 s7, s5
	v_pk_mov_b32 v[12:13], s[6:7], s[6:7] op_sel:[0,1]
	v_mov_b32_e32 v5, s21
	v_add_co_u32_e32 v14, vcc, s20, v14
	v_pk_mov_b32 v[10:11], s[4:5], s[4:5] op_sel:[0,1]
	v_addc_co_u32_e32 v15, vcc, v5, v15, vcc
	s_mov_b32 s10, s8
	s_mov_b32 s11, s8
	v_add_u32_e32 v7, -16, v7
	global_store_dwordx4 v[16:17], v[10:13], off
	global_store_dwordx4 v[16:17], v[10:13], off offset:16
	global_store_dwordx4 v[16:17], v[10:13], off offset:32
	;; [unrolled: 1-line block ×3, first 2 shown]
	s_mov_b32 s9, s8
	v_pk_mov_b32 v[12:13], s[10:11], s[10:11] op_sel:[0,1]
	v_cmp_eq_u32_e32 vcc, 0, v7
	v_pk_mov_b32 v[10:11], s[8:9], s[8:9] op_sel:[0,1]
	s_or_b64 s[14:15], vcc, s[14:15]
	v_add_u32_e32 v4, 16, v4
	global_store_dwordx4 v[14:15], v[10:13], off
	global_store_dwordx4 v[14:15], v[10:13], off offset:16
	global_store_dwordx4 v[14:15], v[10:13], off offset:32
	;; [unrolled: 1-line block ×3, first 2 shown]
	s_andn2_b64 exec, exec, s[14:15]
	s_cbranch_execnz .LBB27_94
; %bb.95:                               ;   in Loop: Header=BB27_91 Depth=1
	s_or_b64 exec, exec, s[14:15]
	v_cmp_ne_u32_e32 vcc, v3, v6
	v_add_u32_e32 v2, v2, v6
	s_orn2_b64 s[6:7], vcc, exec
.LBB27_96:                              ;   in Loop: Header=BB27_91 Depth=1
	s_or_b64 exec, exec, s[0:1]
	s_and_b64 exec, exec, s[6:7]
	s_cbranch_execz .LBB27_90
; %bb.97:                               ;   in Loop: Header=BB27_91 Depth=1
	v_ashrrev_i32_e32 v3, 31, v2
	v_lshlrev_b64 v[6:7], 2, v[2:3]
	v_mov_b32_e32 v3, s19
	v_add_co_u32_e32 v4, vcc, s18, v6
	v_addc_co_u32_e32 v5, vcc, v3, v7, vcc
	v_mov_b32_e32 v3, s21
	v_add_co_u32_e32 v6, vcc, s20, v6
	v_addc_co_u32_e32 v7, vcc, v3, v7, vcc
	s_mov_b64 s[6:7], 0
.LBB27_98:                              ;   Parent Loop BB27_91 Depth=1
                                        ; =>  This Inner Loop Header: Depth=2
	global_store_dword v[6:7], v1, off
	v_add_co_u32_e32 v6, vcc, 4, v6
	v_mov_b32_e32 v3, s4
	v_add_u32_e32 v2, 1, v2
	v_addc_co_u32_e32 v7, vcc, 0, v7, vcc
	global_store_dword v[4:5], v3, off
	v_cmp_ge_i32_e32 vcc, v2, v8
	v_add_co_u32_e64 v4, s[0:1], 4, v4
	s_or_b64 s[6:7], vcc, s[6:7]
	v_addc_co_u32_e64 v5, vcc, 0, v5, s[0:1]
	s_andn2_b64 exec, exec, s[6:7]
	s_cbranch_execnz .LBB27_98
	s_branch .LBB27_90
.LBB27_99:
	s_endpgm
	.section	.rodata,"a",@progbits
	.p2align	6, 0x0
	.amdhsa_kernel _ZN5aiter22opus_moe_sorting_entryINS_16MoeSortingKernelINS_19MoeSortingProblemExIifLi2ELb0ELb0ELb1ELb1ELi0EEEEENS4_5KargsEEEvT0_
		.amdhsa_group_segment_fixed_size 0
		.amdhsa_private_segment_fixed_size 0
		.amdhsa_kernarg_size 400
		.amdhsa_user_sgpr_count 6
		.amdhsa_user_sgpr_private_segment_buffer 1
		.amdhsa_user_sgpr_dispatch_ptr 0
		.amdhsa_user_sgpr_queue_ptr 0
		.amdhsa_user_sgpr_kernarg_segment_ptr 1
		.amdhsa_user_sgpr_dispatch_id 0
		.amdhsa_user_sgpr_flat_scratch_init 0
		.amdhsa_user_sgpr_kernarg_preload_length 0
		.amdhsa_user_sgpr_kernarg_preload_offset 0
		.amdhsa_user_sgpr_private_segment_size 0
		.amdhsa_uses_dynamic_stack 0
		.amdhsa_system_sgpr_private_segment_wavefront_offset 0
		.amdhsa_system_sgpr_workgroup_id_x 1
		.amdhsa_system_sgpr_workgroup_id_y 0
		.amdhsa_system_sgpr_workgroup_id_z 0
		.amdhsa_system_sgpr_workgroup_info 0
		.amdhsa_system_vgpr_workitem_id 0
		.amdhsa_next_free_vgpr 31
		.amdhsa_next_free_sgpr 66
		.amdhsa_accum_offset 32
		.amdhsa_reserve_vcc 1
		.amdhsa_reserve_flat_scratch 0
		.amdhsa_float_round_mode_32 0
		.amdhsa_float_round_mode_16_64 0
		.amdhsa_float_denorm_mode_32 3
		.amdhsa_float_denorm_mode_16_64 3
		.amdhsa_dx10_clamp 1
		.amdhsa_ieee_mode 1
		.amdhsa_fp16_overflow 0
		.amdhsa_tg_split 0
		.amdhsa_exception_fp_ieee_invalid_op 0
		.amdhsa_exception_fp_denorm_src 0
		.amdhsa_exception_fp_ieee_div_zero 0
		.amdhsa_exception_fp_ieee_overflow 0
		.amdhsa_exception_fp_ieee_underflow 0
		.amdhsa_exception_fp_ieee_inexact 0
		.amdhsa_exception_int_div_zero 0
	.end_amdhsa_kernel
	.section	.text._ZN5aiter22opus_moe_sorting_entryINS_16MoeSortingKernelINS_19MoeSortingProblemExIifLi2ELb0ELb0ELb1ELb1ELi0EEEEENS4_5KargsEEEvT0_,"axG",@progbits,_ZN5aiter22opus_moe_sorting_entryINS_16MoeSortingKernelINS_19MoeSortingProblemExIifLi2ELb0ELb0ELb1ELb1ELi0EEEEENS4_5KargsEEEvT0_,comdat
.Lfunc_end27:
	.size	_ZN5aiter22opus_moe_sorting_entryINS_16MoeSortingKernelINS_19MoeSortingProblemExIifLi2ELb0ELb0ELb1ELb1ELi0EEEEENS4_5KargsEEEvT0_, .Lfunc_end27-_ZN5aiter22opus_moe_sorting_entryINS_16MoeSortingKernelINS_19MoeSortingProblemExIifLi2ELb0ELb0ELb1ELb1ELi0EEEEENS4_5KargsEEEvT0_
                                        ; -- End function
	.section	.AMDGPU.csdata,"",@progbits
; Kernel info:
; codeLenInByte = 4320
; NumSgprs: 70
; NumVgprs: 31
; NumAgprs: 0
; TotalNumVgprs: 31
; ScratchSize: 0
; MemoryBound: 0
; FloatMode: 240
; IeeeMode: 1
; LDSByteSize: 0 bytes/workgroup (compile time only)
; SGPRBlocks: 8
; VGPRBlocks: 3
; NumSGPRsForWavesPerEU: 70
; NumVGPRsForWavesPerEU: 31
; AccumOffset: 32
; Occupancy: 8
; WaveLimiterHint : 1
; COMPUTE_PGM_RSRC2:SCRATCH_EN: 0
; COMPUTE_PGM_RSRC2:USER_SGPR: 6
; COMPUTE_PGM_RSRC2:TRAP_HANDLER: 0
; COMPUTE_PGM_RSRC2:TGID_X_EN: 1
; COMPUTE_PGM_RSRC2:TGID_Y_EN: 0
; COMPUTE_PGM_RSRC2:TGID_Z_EN: 0
; COMPUTE_PGM_RSRC2:TIDIG_COMP_CNT: 0
; COMPUTE_PGM_RSRC3_GFX90A:ACCUM_OFFSET: 7
; COMPUTE_PGM_RSRC3_GFX90A:TG_SPLIT: 0
	.section	.text._ZN5aiter22opus_moe_sorting_entryINS_16MoeSortingKernelINS_19MoeSortingProblemExIifLi1ELb0ELb0ELb1ELb1ELi0EEEEENS4_5KargsEEEvT0_,"axG",@progbits,_ZN5aiter22opus_moe_sorting_entryINS_16MoeSortingKernelINS_19MoeSortingProblemExIifLi1ELb0ELb0ELb1ELb1ELi0EEEEENS4_5KargsEEEvT0_,comdat
	.protected	_ZN5aiter22opus_moe_sorting_entryINS_16MoeSortingKernelINS_19MoeSortingProblemExIifLi1ELb0ELb0ELb1ELb1ELi0EEEEENS4_5KargsEEEvT0_ ; -- Begin function _ZN5aiter22opus_moe_sorting_entryINS_16MoeSortingKernelINS_19MoeSortingProblemExIifLi1ELb0ELb0ELb1ELb1ELi0EEEEENS4_5KargsEEEvT0_
	.globl	_ZN5aiter22opus_moe_sorting_entryINS_16MoeSortingKernelINS_19MoeSortingProblemExIifLi1ELb0ELb0ELb1ELb1ELi0EEEEENS4_5KargsEEEvT0_
	.p2align	8
	.type	_ZN5aiter22opus_moe_sorting_entryINS_16MoeSortingKernelINS_19MoeSortingProblemExIifLi1ELb0ELb0ELb1ELb1ELi0EEEEENS4_5KargsEEEvT0_,@function
_ZN5aiter22opus_moe_sorting_entryINS_16MoeSortingKernelINS_19MoeSortingProblemExIifLi1ELb0ELb0ELb1ELb1ELi0EEEEENS4_5KargsEEEvT0_: ; @_ZN5aiter22opus_moe_sorting_entryINS_16MoeSortingKernelINS_19MoeSortingProblemExIifLi1ELb0ELb0ELb1ELb1ELi0EEEEENS4_5KargsEEEvT0_
; %bb.0:
	s_load_dwordx8 s[16:23], s[4:5], 0x18
	s_load_dwordx4 s[12:15], s[4:5], 0x38
	s_load_dwordx2 s[10:11], s[4:5], 0x48
	s_load_dwordx4 s[36:39], s[4:5], 0x54
	s_cmp_eq_u32 s6, 0
	s_waitcnt lgkmcnt(0)
	s_load_dword s33, s[16:17], 0x0
	s_cbranch_scc1 .LBB28_7
; %bb.1:
	s_cmp_eq_u64 s[14:15], 0
	s_mov_b64 s[2:3], 0
	s_cbranch_scc1 .LBB28_6
; %bb.2:
	s_waitcnt lgkmcnt(0)
	s_ashr_i32 s0, s33, 31
	s_mul_i32 s7, s38, s37
	s_mul_hi_i32 s1, s38, s37
	s_mul_i32 s0, s7, s0
	s_mul_hi_u32 s8, s7, s33
	s_add_i32 s0, s8, s0
	s_mul_i32 s1, s1, s33
	s_add_i32 s1, s0, s1
	s_mul_i32 s0, s7, s33
	s_ashr_i32 s7, s1, 31
	s_lshr_b32 s8, s7, 28
	s_add_u32 s0, s0, s8
	s_addc_u32 s1, s1, 0
	v_lshl_add_u32 v1, s6, 8, v0
	s_ashr_i64 s[8:9], s[0:1], 4
	v_add_u32_e32 v2, 0xffffff00, v1
	v_mov_b32_e32 v3, 0
	s_mov_b32 s7, 0
	v_cmp_gt_i64_e32 vcc, s[8:9], v[2:3]
	s_and_saveexec_b64 s[16:17], vcc
	s_cbranch_execz .LBB28_5
; %bb.3:
	s_load_dword s0, s[4:5], 0x90
	v_lshlrev_b64 v[4:5], 4, v[2:3]
	v_mov_b32_e32 v1, s15
	v_add_co_u32_e32 v8, vcc, s14, v4
	s_waitcnt lgkmcnt(0)
	s_lshl_b32 s0, s0, 8
	s_add_i32 s6, s0, 0xffffff00
	s_lshl_b64 s[14:15], s[6:7], 4
	v_pk_mov_b32 v[6:7], v[2:3], v[2:3] op_sel:[0,1]
	v_addc_co_u32_e32 v9, vcc, v1, v5, vcc
	s_mov_b64 s[24:25], 0
	v_mov_b32_e32 v2, v3
	v_mov_b32_e32 v4, v3
	;; [unrolled: 1-line block ×5, first 2 shown]
.LBB28_4:                               ; =>This Inner Loop Header: Depth=1
	v_add_co_u32_e32 v6, vcc, s6, v6
	v_addc_co_u32_e32 v7, vcc, v7, v1, vcc
	global_store_dwordx4 v[8:9], v[2:5], off
	v_add_co_u32_e32 v8, vcc, s14, v8
	v_cmp_le_i64_e64 s[0:1], s[8:9], v[6:7]
	s_or_b64 s[24:25], s[0:1], s[24:25]
	v_addc_co_u32_e32 v9, vcc, v9, v10, vcc
	s_andn2_b64 exec, exec, s[24:25]
	s_cbranch_execnz .LBB28_4
.LBB28_5:
	s_or_b64 exec, exec, s[16:17]
.LBB28_6:
	s_andn2_b64 vcc, exec, s[2:3]
	s_cbranch_vccz .LBB28_8
	s_branch .LBB28_99
.LBB28_7:
.LBB28_8:
	s_load_dwordx8 s[24:31], s[4:5], 0x64
	s_load_dwordx4 s[40:43], s[4:5], 0x0
	s_load_dwordx2 s[34:35], s[4:5], 0x84
	v_lshrrev_b32_e32 v1, 6, v0
	v_readfirstlane_b32 s44, v1
	s_waitcnt lgkmcnt(0)
	s_add_i32 s37, s24, -2
	s_mul_i32 s49, s37, s36
	s_add_i32 s48, s36, 1
	v_cmp_gt_i32_e64 s[0:1], s49, v0
	v_xad_u32 v8, v0, -1, s49
	s_and_saveexec_b64 s[2:3], s[0:1]
	s_cbranch_execz .LBB28_18
; %bb.9:
	s_movk_i32 s6, 0xff
	s_mov_b32 s5, 0
	s_mov_b32 s4, s34
	s_sub_i32 s14, s48, s31
	v_cmp_lt_u32_e32 vcc, s6, v8
	s_mov_b64 s[8:9], 0
                                        ; implicit-def: $vgpr1
                                        ; implicit-def: $sgpr15
	s_and_saveexec_b64 s[6:7], vcc
	s_xor_b64 s[6:7], exec, s[6:7]
	s_cbranch_execnz .LBB28_12
; %bb.10:
	s_or_saveexec_b64 s[6:7], s[6:7]
	v_mov_b32_e32 v2, s15
	s_xor_b64 exec, exec, s[6:7]
	s_cbranch_execnz .LBB28_15
.LBB28_11:
	s_or_b64 exec, exec, s[6:7]
	s_and_b64 exec, exec, s[8:9]
	s_cbranch_execnz .LBB28_16
	s_branch .LBB28_18
.LBB28_12:
	v_lshrrev_b32_e32 v1, 8, v8
	v_add_u32_e32 v4, 1, v1
	s_lshl_b32 s15, s36, 3
	v_and_b32_e32 v5, 0x1fffffe, v4
	v_add_u32_e32 v1, 0x100, v0
	s_add_i32 s8, s15, 0
	s_mov_b32 s16, s4
	s_mov_b32 s17, s35
	;; [unrolled: 1-line block ×4, first 2 shown]
	v_lshl_add_u32 v6, v0, 2, s8
	s_mov_b64 s[8:9], 0
	v_mov_b32_e32 v7, 0
	v_mov_b32_e32 v9, v5
	v_pk_mov_b32 v[2:3], v[0:1], v[0:1] op_sel:[0,1]
.LBB28_13:                              ; =>This Inner Loop Header: Depth=1
	v_mul_hi_u32 v1, s4, v2
	v_mul_hi_u32 v10, s16, v3
	v_add_u32_e32 v10, v3, v10
	v_add_u32_e32 v1, v2, v1
	v_add_u32_e32 v9, -2, v9
	v_lshrrev_b32_e32 v1, s17, v1
	v_lshrrev_b32_e32 v10, s38, v10
	v_cmp_eq_u32_e32 vcc, 0, v9
	v_mul_lo_u32 v10, v10, s39
	v_mul_lo_u32 v1, v1, s14
	v_add_u32_e32 v3, 0x200, v3
	v_add_u32_e32 v2, 0x200, v2
	s_or_b64 s[8:9], vcc, s[8:9]
	v_lshl_add_u32 v1, v1, 2, v6
	v_lshl_add_u32 v10, v10, 2, v6
	v_add_u32_e32 v6, 0x800, v6
	ds_write_b32 v1, v7 offset:8
	ds_write_b32 v10, v7 offset:1032
	s_andn2_b64 exec, exec, s[8:9]
	s_cbranch_execnz .LBB28_13
; %bb.14:
	s_or_b64 exec, exec, s[8:9]
	v_cmp_ne_u32_e32 vcc, v4, v5
	v_lshl_add_u32 v1, v5, 8, v0
	s_and_b64 s[8:9], vcc, exec
	s_or_saveexec_b64 s[6:7], s[6:7]
	v_mov_b32_e32 v2, s15
	s_xor_b64 exec, exec, s[6:7]
	s_cbranch_execz .LBB28_11
.LBB28_15:
	s_lshl_b32 s15, s36, 3
	v_mov_b32_e32 v2, s15
	s_or_b64 s[8:9], s[8:9], exec
	v_mov_b32_e32 v1, v0
	s_or_b64 exec, exec, s[6:7]
	s_and_b64 exec, exec, s[8:9]
	s_cbranch_execz .LBB28_18
.LBB28_16:
	v_lshl_add_u32 v2, v1, 2, v2
	v_mad_u64_u32 v[4:5], s[6:7], v1, s4, 0
	s_lshl_b64 s[4:5], s[4:5], 8
	s_lshl_b32 s8, s14, 2
	v_add3_u32 v2, v2, 0, 8
	s_mov_b64 s[6:7], 0
	v_mov_b32_e32 v3, 0
	v_mov_b32_e32 v6, s5
.LBB28_17:                              ; =>This Inner Loop Header: Depth=1
	v_add_co_u32_e32 v4, vcc, s4, v4
	v_add_u32_e32 v7, v1, v5
	v_add_u32_e32 v1, 0x100, v1
	v_addc_co_u32_e32 v5, vcc, v5, v6, vcc
	v_lshrrev_b32_e32 v7, s35, v7
	v_cmp_le_i32_e32 vcc, s49, v1
	v_mad_u64_u32 v[10:11], s[14:15], s8, v7, v[2:3]
	v_add_u32_e32 v2, 0x400, v2
	s_or_b64 s[6:7], vcc, s[6:7]
	ds_write_b32 v10, v3
	s_andn2_b64 exec, exec, s[6:7]
	s_cbranch_execnz .LBB28_17
.LBB28_18:
	s_or_b64 exec, exec, s[2:3]
	s_lshl_b32 s2, s48, 3
	s_add_i32 s50, s2, 0
	s_cmp_gt_i32 s33, 0
	s_mul_i32 s51, s28, s37
	s_mov_b32 s5, 0
	s_cselect_b64 s[14:15], -1, 0
	s_cmp_lt_i32 s33, 1
	v_cmp_gt_i32_e32 vcc, s51, v0
	s_waitcnt lgkmcnt(0)
	s_barrier
	s_cbranch_scc1 .LBB28_26
; %bb.19:
	s_mov_b32 s4, s29
	v_mad_u64_u32 v[2:3], s[2:3], v0, s29, 0
	s_lshl_b64 s[6:7], s[4:5], 8
	v_mov_b32_e32 v5, 0
	s_mov_b32 s4, 0
	s_branch .LBB28_21
.LBB28_20:                              ;   in Loop: Header=BB28_21 Depth=1
	s_or_b64 exec, exec, s[8:9]
	s_add_i32 s4, s4, s37
	s_add_i32 s5, s5, s51
	s_cmp_ge_i32 s4, s33
	s_barrier
	s_cbranch_scc1 .LBB28_26
.LBB28_21:                              ; =>This Loop Header: Depth=1
                                        ;     Child Loop BB28_24 Depth 2
	s_and_saveexec_b64 s[8:9], vcc
	s_cbranch_execz .LBB28_20
; %bb.22:                               ;   in Loop: Header=BB28_21 Depth=1
	s_mov_b64 s[16:17], 0
	v_pk_mov_b32 v[6:7], v[2:3], v[2:3] op_sel:[0,1]
	v_mov_b32_e32 v1, v0
	s_branch .LBB28_24
.LBB28_23:                              ;   in Loop: Header=BB28_24 Depth=2
	s_or_b64 exec, exec, s[38:39]
	v_add_u32_e32 v1, 0x100, v1
	v_cmp_le_i32_e64 s[2:3], s51, v1
	v_mov_b32_e32 v4, s7
	s_or_b64 s[16:17], s[2:3], s[16:17]
	v_add_co_u32_e64 v6, s[2:3], s6, v6
	v_addc_co_u32_e64 v7, s[2:3], v7, v4, s[2:3]
	s_waitcnt lgkmcnt(0)
	s_andn2_b64 exec, exec, s[16:17]
	s_cbranch_execz .LBB28_20
.LBB28_24:                              ;   Parent Loop BB28_21 Depth=1
                                        ; =>  This Inner Loop Header: Depth=2
	v_add_u32_e32 v4, v1, v7
	v_lshrrev_b32_e32 v9, s30, v4
	v_add_u32_e32 v4, s4, v9
	v_cmp_gt_i32_e64 s[2:3], s33, v4
	s_and_saveexec_b64 s[38:39], s[2:3]
	s_cbranch_execz .LBB28_23
; %bb.25:                               ;   in Loop: Header=BB28_24 Depth=2
	v_add_u32_e32 v4, s5, v1
	v_lshlrev_b64 v[10:11], 2, v[4:5]
	v_mov_b32_e32 v4, s41
	v_add_co_u32_e64 v10, s[2:3], s40, v10
	v_addc_co_u32_e64 v11, s[2:3], v4, v11, s[2:3]
	global_load_dword v4, v[10:11], off
	v_mul_lo_u32 v9, v9, s48
	v_lshlrev_b32_e32 v9, 2, v9
	s_waitcnt vmcnt(0)
	v_lshlrev_b32_e32 v4, 2, v4
	v_add3_u32 v4, s50, v4, v9
	ds_read_b32 v9, v4
	s_waitcnt lgkmcnt(0)
	v_add_u32_e32 v9, 1, v9
	ds_write_b32 v4, v9
	s_branch .LBB28_23
.LBB28_26:
	v_cmp_eq_u32_e32 vcc, 0, v0
	s_and_saveexec_b64 s[2:3], vcc
	s_cbranch_execz .LBB28_28
; %bb.27:
	v_mov_b32_e32 v1, 0
	ds_write_b32 v1, v1
.LBB28_28:
	s_or_b64 exec, exec, s[2:3]
	v_mbcnt_lo_u32_b32 v1, -1, 0
	v_and_b32_e32 v15, 7, v0
	v_mbcnt_hi_u32_b32 v11, -1, v1
	v_lshrrev_b32_e32 v14, 3, v0
	v_mul_lo_u32 v1, s48, v15
	v_cmp_gt_i32_e64 s[2:3], s36, v14
	v_lshlrev_b32_e32 v9, 2, v1
	v_lshlrev_b32_e32 v10, 2, v14
	s_and_saveexec_b64 s[8:9], s[2:3]
	s_cbranch_execz .LBB28_36
; %bb.29:
	s_cmp_gt_i32 s24, 2
	s_cselect_b64 s[6:7], -1, 0
	s_lshl_b32 s16, s36, 3
	v_lshlrev_b32_e32 v3, 2, v11
	v_add3_u32 v4, v9, s16, v10
	s_lshl_b32 s24, s36, 5
	v_cndmask_b32_e64 v5, 0, 1, s[6:7]
	v_xor_b32_e32 v1, 4, v3
	v_xor_b32_e32 v2, 8, v3
	;; [unrolled: 1-line block ×3, first 2 shown]
	v_cmp_eq_u32_e64 s[4:5], 0, v15
	v_add3_u32 v4, v4, 0, 8
	s_add_i32 s24, s24, 32
	s_mov_b64 s[16:17], 0
	v_cmp_ne_u32_e64 s[6:7], 1, v5
	v_mov_b32_e32 v5, v14
	s_branch .LBB28_31
.LBB28_30:                              ;   in Loop: Header=BB28_31 Depth=1
	s_or_b64 exec, exec, s[38:39]
	v_add_u32_e32 v5, 32, v5
	v_cmp_le_i32_e32 vcc, s36, v5
	s_or_b64 s[16:17], vcc, s[16:17]
	v_add_u32_e32 v4, 0x80, v4
	s_andn2_b64 exec, exec, s[16:17]
	s_cbranch_execz .LBB28_36
.LBB28_31:                              ; =>This Loop Header: Depth=1
                                        ;     Child Loop BB28_33 Depth 2
	s_and_b64 vcc, exec, s[6:7]
	v_mov_b32_e32 v6, 0
	s_cbranch_vccnz .LBB28_34
; %bb.32:                               ;   in Loop: Header=BB28_31 Depth=1
	s_mov_b32 s38, 0
	v_mov_b32_e32 v6, 0
	v_mov_b32_e32 v7, v4
.LBB28_33:                              ;   Parent Loop BB28_31 Depth=1
                                        ; =>  This Inner Loop Header: Depth=2
	ds_read_b32 v12, v7
	s_add_i32 s38, s38, 8
	v_add_u32_e32 v7, s24, v7
	s_cmp_ge_i32 s38, s37
	s_waitcnt lgkmcnt(0)
	ds_bpermute_b32 v13, v1, v12
	s_waitcnt lgkmcnt(0)
	v_add_u32_e32 v12, v13, v12
	ds_bpermute_b32 v13, v2, v12
	s_waitcnt lgkmcnt(0)
	v_add_u32_e32 v12, v13, v12
	ds_bpermute_b32 v13, v3, v12
	s_waitcnt lgkmcnt(0)
	v_add3_u32 v6, v12, v6, v13
	s_cbranch_scc0 .LBB28_33
.LBB28_34:                              ;   in Loop: Header=BB28_31 Depth=1
	s_and_saveexec_b64 s[38:39], s[4:5]
	s_cbranch_execz .LBB28_30
; %bb.35:                               ;   in Loop: Header=BB28_31 Depth=1
	v_lshl_add_u32 v7, v5, 2, 0
	ds_write_b32 v7, v6 offset:4
	s_branch .LBB28_30
.LBB28_36:
	s_or_b64 exec, exec, s[8:9]
	s_cmp_lg_u32 s44, 0
	s_mov_b32 s24, 0
	s_waitcnt lgkmcnt(0)
	s_barrier
	s_cbranch_scc1 .LBB28_45
; %bb.37:
	s_cmp_lt_i32 s36, 1
	v_mov_b32_e32 v2, 0
	s_cbranch_scc1 .LBB28_42
; %bb.38:
	v_lshlrev_b32_e32 v2, 2, v11
	v_and_b32_e32 v3, 0xc0, v2
	v_cmp_eq_u32_e32 vcc, 0, v11
	s_add_i32 s38, s25, -1
	v_add_u32_e32 v1, -4, v3
	v_cmp_lt_u32_e64 s[4:5], 15, v11
	v_add_u32_e32 v3, 0xffffffbc, v3
	v_cmp_lt_u32_e64 s[6:7], 31, v11
	v_add3_u32 v4, v2, 0, 4
	s_branch .LBB28_40
.LBB28_39:                              ;   in Loop: Header=BB28_40 Depth=1
	s_or_b64 exec, exec, s[16:17]
	s_add_i32 s24, s24, 64
	s_cmp_lt_i32 s24, s36
	v_add_u32_e32 v4, 0x100, v4
	s_waitcnt lgkmcnt(0)
	s_cbranch_scc0 .LBB28_42
.LBB28_40:                              ; =>This Inner Loop Header: Depth=1
	ds_read_b32 v5, v4
	v_mov_b32_e32 v2, s24
	v_cndmask_b32_e32 v2, 0, v2, vcc
	v_lshl_add_u32 v2, v2, 2, 0
	ds_read_b32 v2, v2
	s_waitcnt lgkmcnt(1)
	v_add_u32_e32 v5, s38, v5
	v_mul_hi_u32 v6, v5, s26
	v_add_u32_e32 v5, v5, v6
	v_lshrrev_b32_e32 v5, s27, v5
	s_waitcnt lgkmcnt(0)
	v_mad_u64_u32 v[6:7], s[8:9], v5, s25, v[2:3]
	s_nop 1
	v_add_u32_dpp v2, v6, v6 row_shr:1 row_mask:0xf bank_mask:0xf bound_ctrl:1
	v_add_u32_e32 v6, s24, v11
	v_cmp_gt_i32_e64 s[8:9], s36, v6
	v_add_u32_dpp v2, v2, v2 row_shr:2 row_mask:0xf bank_mask:0xf bound_ctrl:1
	s_nop 1
	v_add_u32_dpp v2, v2, v2 row_shr:4 row_mask:0xf bank_mask:0xf bound_ctrl:1
	s_nop 1
	v_add_u32_dpp v2, v2, v2 row_shr:8 row_mask:0xf bank_mask:0xf bound_ctrl:1
	ds_bpermute_b32 v5, v1, v2
	s_waitcnt lgkmcnt(0)
	v_cndmask_b32_e64 v5, 0, v5, s[4:5]
	v_add_u32_e32 v2, v2, v5
	ds_bpermute_b32 v5, v3, v2
	s_waitcnt lgkmcnt(0)
	v_cndmask_b32_e64 v5, 0, v5, s[6:7]
	v_add_u32_e32 v2, v2, v5
	s_and_saveexec_b64 s[16:17], s[8:9]
	s_cbranch_execz .LBB28_39
; %bb.41:                               ;   in Loop: Header=BB28_40 Depth=1
	ds_write_b32 v4, v2
	s_branch .LBB28_39
.LBB28_42:
	v_add_u32_e32 v1, s24, v11
	v_subrev_u32_e32 v1, 63, v1
	v_cmp_eq_u32_e32 vcc, s36, v1
	s_and_saveexec_b64 s[4:5], vcc
	s_cbranch_execz .LBB28_44
; %bb.43:
	v_mov_b32_e32 v1, 0
	v_mov_b32_e32 v3, s33
	global_store_dwordx2 v1, v[2:3], s[12:13]
.LBB28_44:
	s_or_b64 exec, exec, s[4:5]
.LBB28_45:
	s_cmp_eq_u64 s[10:11], 0
	s_barrier
	s_cbranch_scc1 .LBB28_55
; %bb.46:
	s_mul_i32 s16, s33, s28
	v_cmp_gt_i32_e32 vcc, s16, v0
	s_and_saveexec_b64 s[6:7], vcc
	s_cbranch_execz .LBB28_54
; %bb.47:
	v_xad_u32 v1, v0, -1, s16
	s_movk_i32 s4, 0xff
	v_cmp_lt_u32_e32 vcc, s4, v1
	s_mov_b64 s[4:5], -1
	v_mov_b32_e32 v2, v0
	s_and_saveexec_b64 s[8:9], vcc
	s_cbranch_execz .LBB28_51
; %bb.48:
	v_lshrrev_b32_e32 v1, 8, v1
	v_add_u32_e32 v6, 1, v1
	v_and_b32_e32 v7, 0x1fffffe, v6
	v_add_u32_e32 v1, 0x100, v0
	s_mov_b64 s[12:13], 0
	v_mov_b32_e32 v12, s41
	v_mov_b32_e32 v13, s11
	v_mov_b32_e32 v3, 0
	v_mov_b32_e32 v16, v7
	v_pk_mov_b32 v[4:5], v[0:1], v[0:1] op_sel:[0,1]
.LBB28_49:                              ; =>This Inner Loop Header: Depth=1
	v_mov_b32_e32 v2, v4
	v_lshlrev_b64 v[18:19], 2, v[2:3]
	v_mov_b32_e32 v2, v5
	v_add_co_u32_e32 v20, vcc, s40, v18
	v_addc_co_u32_e32 v21, vcc, v12, v19, vcc
	v_lshlrev_b64 v[22:23], 2, v[2:3]
	v_add_co_u32_e32 v24, vcc, s40, v22
	v_addc_co_u32_e32 v25, vcc, v12, v23, vcc
	global_load_dword v1, v[20:21], off
	global_load_dword v2, v[24:25], off
	v_add_u32_e32 v16, -2, v16
	v_cmp_eq_u32_e32 vcc, 0, v16
	v_add_co_u32_e64 v18, s[4:5], s10, v18
	v_add_u32_e32 v4, 0x200, v4
	v_add_u32_e32 v5, 0x200, v5
	v_addc_co_u32_e64 v19, s[4:5], v13, v19, s[4:5]
	s_or_b64 s[12:13], vcc, s[12:13]
	v_add_co_u32_e32 v20, vcc, s10, v22
	v_addc_co_u32_e32 v21, vcc, v13, v23, vcc
	s_waitcnt vmcnt(1)
	global_store_dword v[18:19], v1, off
	s_waitcnt vmcnt(1)
	global_store_dword v[20:21], v2, off
	s_andn2_b64 exec, exec, s[12:13]
	s_cbranch_execnz .LBB28_49
; %bb.50:
	s_or_b64 exec, exec, s[12:13]
	v_cmp_ne_u32_e32 vcc, v6, v7
	v_lshl_add_u32 v2, v7, 8, v0
	s_orn2_b64 s[4:5], vcc, exec
.LBB28_51:
	s_or_b64 exec, exec, s[8:9]
	s_and_b64 exec, exec, s[4:5]
	s_cbranch_execz .LBB28_54
; %bb.52:
	v_mov_b32_e32 v3, 0
	v_lshlrev_b64 v[6:7], 2, v[2:3]
	v_mov_b32_e32 v1, s41
	v_add_co_u32_e32 v4, vcc, s40, v6
	v_addc_co_u32_e32 v5, vcc, v1, v7, vcc
	v_mov_b32_e32 v1, s11
	v_add_co_u32_e32 v6, vcc, s10, v6
	v_addc_co_u32_e32 v7, vcc, v1, v7, vcc
	s_mov_b64 s[4:5], 0
.LBB28_53:                              ; =>This Inner Loop Header: Depth=1
	global_load_dword v1, v[4:5], off
	v_add_co_u32_e32 v4, vcc, 0x400, v4
	v_add_u32_e32 v2, 0x100, v2
	v_addc_co_u32_e32 v5, vcc, 0, v5, vcc
	v_cmp_le_i32_e32 vcc, s16, v2
	s_or_b64 s[4:5], vcc, s[4:5]
	s_waitcnt vmcnt(0)
	global_store_dword v[6:7], v1, off
	v_add_co_u32_e32 v6, vcc, 0x400, v6
	v_addc_co_u32_e32 v7, vcc, 0, v7, vcc
	s_andn2_b64 exec, exec, s[4:5]
	s_cbranch_execnz .LBB28_53
.LBB28_54:
	s_or_b64 exec, exec, s[6:7]
	s_barrier
.LBB28_55:
	s_lshl_b32 s16, s36, 2
	s_add_i32 s17, s16, 0
	s_add_i32 s52, s17, 4
	v_cmp_gt_i32_e64 s[4:5], s36, v0
	s_and_saveexec_b64 s[6:7], s[4:5]
	s_cbranch_execz .LBB28_61
; %bb.56:
	s_mov_b64 s[8:9], 0
	v_mov_b32_e32 v3, 0
	v_mov_b32_e32 v1, v0
	s_branch .LBB28_58
.LBB28_57:                              ;   in Loop: Header=BB28_58 Depth=1
	s_or_b64 exec, exec, s[10:11]
	v_add_u32_e32 v1, 0x100, v1
	v_cmp_le_i32_e32 vcc, s36, v1
	s_or_b64 s[8:9], vcc, s[8:9]
	s_andn2_b64 exec, exec, s[8:9]
	s_cbranch_execz .LBB28_61
.LBB28_58:                              ; =>This Loop Header: Depth=1
                                        ;     Child Loop BB28_60 Depth 2
	v_lshlrev_b32_e32 v2, 2, v1
	v_add_u32_e32 v4, 0, v2
	ds_read2_b32 v[4:5], v4 offset1:1
	v_add_u32_e32 v2, s52, v2
	s_waitcnt lgkmcnt(0)
	v_cmp_lt_i32_e32 vcc, v4, v5
	ds_write_b32 v2, v4
	s_and_saveexec_b64 s[10:11], vcc
	s_cbranch_execz .LBB28_57
; %bb.59:                               ;   in Loop: Header=BB28_58 Depth=1
	s_mov_b64 s[12:13], 0
.LBB28_60:                              ;   Parent Loop BB28_58 Depth=1
                                        ; =>  This Inner Loop Header: Depth=2
	v_mul_hi_u32 v2, s26, v4
	v_add_u32_e32 v2, v4, v2
	v_add_u32_e32 v4, s25, v4
	v_lshrrev_b32_e32 v2, s27, v2
	v_cmp_ge_i32_e32 vcc, v4, v5
	v_lshlrev_b64 v[6:7], 2, v[2:3]
	v_mov_b32_e32 v12, s23
	s_or_b64 s[12:13], vcc, s[12:13]
	v_add_co_u32_e32 v6, vcc, s22, v6
	v_addc_co_u32_e32 v7, vcc, v12, v7, vcc
	global_store_dword v[6:7], v1, off
	s_andn2_b64 exec, exec, s[12:13]
	s_cbranch_execnz .LBB28_60
	s_branch .LBB28_57
.LBB28_61:
	s_or_b64 exec, exec, s[6:7]
	v_mov_b32_e32 v1, s17
	s_waitcnt lgkmcnt(0)
	s_barrier
	ds_read_b32 v1, v1
	s_add_i32 s6, s17, s16
	v_mov_b32_e32 v2, s6
	s_andn2_b64 vcc, exec, s[14:15]
	s_waitcnt lgkmcnt(0)
	ds_write_b32 v2, v1 offset:4
	s_cbranch_vccnz .LBB28_88
; %bb.62:
	s_sub_i32 s31, s48, s31
	s_add_u32 s55, s18, -4
	s_addc_u32 s56, s19, -1
	v_and_b32_e32 v1, 8, v11
	s_add_u32 s57, s42, -4
	v_cmp_eq_u32_e64 s[8:9], 0, v1
	v_lshrrev_b32_e32 v1, 8, v8
	s_addc_u32 s58, s43, -1
	v_add_u32_e32 v3, 1, v1
	s_add_u32 s59, s20, -4
	s_mov_b32 s23, 0
	s_movk_i32 s10, 0xff
	v_and_b32_e32 v18, 0x1fffffe, v3
	s_addc_u32 s60, s21, -1
	s_lshl_b32 s38, s36, 3
	s_mov_b32 s22, s34
	s_mov_b32 s14, s29
	;; [unrolled: 1-line block ×3, first 2 shown]
	v_lshlrev_b32_e32 v16, 2, v0
	v_cmp_lt_u32_e64 s[10:11], s10, v8
	v_lshl_add_u32 v2, v18, 8, v0
	v_cmp_ne_u32_e64 s[12:13], v3, v18
	s_add_i32 s16, s38, 0
	v_mov_b32_e32 v3, 0
	v_add3_u32 v8, v9, s38, v10
	s_lshl_b32 s63, s36, 5
	v_cmp_gt_i32_e32 vcc, s51, v0
	v_cmp_gt_i32_e64 s[6:7], s37, v15
	v_or_b32_e32 v17, 28, v16
	v_add_u32_e32 v1, 0x100, v0
	s_mov_b32 s53, s35
	s_mov_b32 s54, s31
	v_add_u32_e32 v19, s16, v16
	s_lshl_b32 s61, s31, 2
	s_lshl_b64 s[24:25], s[22:23], 8
	s_sub_i32 s62, 0, s28
	v_mov_b32_e32 v4, v0
	v_mov_b32_e32 v5, v3
	v_mad_u64_u32 v[6:7], s[16:17], v0, s29, 0
	s_lshl_b64 s[26:27], s[14:15], 8
	v_mul_lo_u32 v20, s28, v15
	s_lshl_b32 s29, s28, 3
	v_add3_u32 v21, v8, 0, 8
	s_add_i32 s63, s63, 32
	v_lshlrev_b32_e32 v22, 2, v2
	s_mov_b32 s64, 0x4020100
	s_mov_b32 s65, s23
	s_branch .LBB28_64
.LBB28_63:                              ;   in Loop: Header=BB28_64 Depth=1
	s_or_b64 exec, exec, s[38:39]
	s_add_i32 s65, s65, s37
	s_add_i32 s23, s23, s51
	s_cmp_ge_i32 s65, s33
	v_add_u32_e32 v20, s51, v20
	s_waitcnt lgkmcnt(0)
	s_barrier
	s_cbranch_scc1 .LBB28_88
.LBB28_64:                              ; =>This Loop Header: Depth=1
                                        ;     Child Loop BB28_67 Depth 2
                                        ;     Child Loop BB28_73 Depth 2
	;; [unrolled: 1-line block ×4, first 2 shown]
                                        ;       Child Loop BB28_86 Depth 3
	s_and_saveexec_b64 s[16:17], s[0:1]
	s_cbranch_execz .LBB28_74
; %bb.65:                               ;   in Loop: Header=BB28_64 Depth=1
	s_mov_b64 s[14:15], -1
	v_mov_b32_e32 v23, v0
	v_mov_b32_e32 v8, v16
	v_pk_mov_b32 v[12:13], v[4:5], v[4:5] op_sel:[0,1]
	s_and_saveexec_b64 s[38:39], s[10:11]
	s_cbranch_execz .LBB28_71
; %bb.66:                               ;   in Loop: Header=BB28_64 Depth=1
	s_mov_b64 s[42:43], 0
	v_mov_b32_e32 v10, v18
	v_mov_b32_e32 v11, v19
	v_pk_mov_b32 v[8:9], v[0:1], v[0:1] op_sel:[0,1]
.LBB28_67:                              ;   Parent Loop BB28_64 Depth=1
                                        ; =>  This Inner Loop Header: Depth=2
	v_mul_hi_u32 v12, s22, v8
	v_mul_hi_u32 v13, s34, v9
	v_add_u32_e32 v13, v9, v13
	v_add_u32_e32 v12, v8, v12
	v_add_u32_e32 v10, -2, v10
	v_lshrrev_b32_e32 v12, s53, v12
	v_lshrrev_b32_e32 v13, s35, v13
	v_cmp_eq_u32_e64 s[14:15], 0, v10
	v_mul_lo_u32 v13, v13, s54
	v_mul_lo_u32 v12, v12, s31
	v_add_u32_e32 v9, 0x200, v9
	v_add_u32_e32 v8, 0x200, v8
	s_or_b64 s[42:43], s[14:15], s[42:43]
	v_lshl_add_u32 v12, v12, 2, v11
	v_lshl_add_u32 v13, v13, 2, v11
	v_add_u32_e32 v11, 0x800, v11
	ds_write_b32 v12, v3 offset:8
	ds_write_b32 v13, v3 offset:1032
	s_andn2_b64 exec, exec, s[42:43]
	s_cbranch_execnz .LBB28_67
; %bb.68:                               ;   in Loop: Header=BB28_64 Depth=1
	s_or_b64 exec, exec, s[42:43]
	s_mov_b64 s[14:15], 0
                                        ; implicit-def: $vgpr12_vgpr13
	s_and_saveexec_b64 s[42:43], s[12:13]
	s_xor_b64 s[42:43], exec, s[42:43]
; %bb.69:                               ;   in Loop: Header=BB28_64 Depth=1
	s_mov_b64 s[14:15], exec
	v_pk_mov_b32 v[12:13], v[2:3], v[2:3] op_sel:[0,1]
; %bb.70:                               ;   in Loop: Header=BB28_64 Depth=1
	s_or_b64 exec, exec, s[42:43]
	s_orn2_b64 s[14:15], s[14:15], exec
	v_mov_b32_e32 v23, v2
	v_mov_b32_e32 v8, v22
.LBB28_71:                              ;   in Loop: Header=BB28_64 Depth=1
	s_or_b64 exec, exec, s[38:39]
	s_and_b64 exec, exec, s[14:15]
	s_cbranch_execz .LBB28_74
; %bb.72:                               ;   in Loop: Header=BB28_64 Depth=1
	v_mad_u64_u32 v[10:11], s[14:15], s22, v12, 0
	v_mov_b32_e32 v12, v11
	v_mad_u64_u32 v[12:13], s[14:15], s22, v13, v[12:13]
	v_add_u32_e32 v8, s50, v8
	v_mov_b32_e32 v9, v12
	s_mov_b64 s[38:39], 0
.LBB28_73:                              ;   Parent Loop BB28_64 Depth=1
                                        ; =>  This Inner Loop Header: Depth=2
	v_mov_b32_e32 v12, s25
	v_add_co_u32_e64 v10, s[14:15], s24, v10
	v_add_u32_e32 v11, v23, v9
	v_add_u32_e32 v23, 0x100, v23
	v_addc_co_u32_e64 v9, s[14:15], v9, v12, s[14:15]
	v_lshrrev_b32_e32 v11, s35, v11
	v_cmp_le_i32_e64 s[14:15], s49, v23
	v_mad_u64_u32 v[12:13], s[42:43], s61, v11, v[8:9]
	v_add_u32_e32 v8, 0x400, v8
	s_or_b64 s[38:39], s[14:15], s[38:39]
	ds_write_b32 v12, v3
	s_andn2_b64 exec, exec, s[38:39]
	s_cbranch_execnz .LBB28_73
.LBB28_74:                              ;   in Loop: Header=BB28_64 Depth=1
	s_or_b64 exec, exec, s[16:17]
	s_waitcnt lgkmcnt(0)
	s_barrier
	s_and_saveexec_b64 s[16:17], vcc
	s_cbranch_execz .LBB28_79
; %bb.75:                               ;   in Loop: Header=BB28_64 Depth=1
	s_mov_b64 s[38:39], 0
	v_pk_mov_b32 v[8:9], v[6:7], v[6:7] op_sel:[0,1]
	v_mov_b32_e32 v10, v0
	s_branch .LBB28_77
.LBB28_76:                              ;   in Loop: Header=BB28_77 Depth=2
	s_or_b64 exec, exec, s[42:43]
	v_add_u32_e32 v10, 0x100, v10
	v_cmp_le_i32_e64 s[14:15], s51, v10
	v_mov_b32_e32 v11, s27
	s_or_b64 s[38:39], s[14:15], s[38:39]
	v_add_co_u32_e64 v8, s[14:15], s26, v8
	v_addc_co_u32_e64 v9, s[14:15], v9, v11, s[14:15]
	s_andn2_b64 exec, exec, s[38:39]
	s_cbranch_execz .LBB28_79
.LBB28_77:                              ;   Parent Loop BB28_64 Depth=1
                                        ; =>  This Inner Loop Header: Depth=2
	v_add_u32_e32 v11, v10, v9
	v_lshrrev_b32_e32 v11, s30, v11
	v_add_u32_e32 v12, s65, v11
	v_cmp_gt_i32_e64 s[14:15], s33, v12
	s_and_saveexec_b64 s[42:43], s[14:15]
	s_cbranch_execz .LBB28_76
; %bb.78:                               ;   in Loop: Header=BB28_77 Depth=2
	v_add_u32_e32 v12, s23, v10
	v_ashrrev_i32_e32 v13, 31, v12
	v_lshlrev_b64 v[12:13], 2, v[12:13]
	v_mov_b32_e32 v23, s41
	v_add_co_u32_e64 v12, s[14:15], s40, v12
	v_addc_co_u32_e64 v13, s[14:15], v23, v13, s[14:15]
	global_load_dword v12, v[12:13], off
	v_mul_lo_u32 v13, s62, v11
	v_mul_lo_u32 v11, v11, s48
	v_lshlrev_b32_e32 v11, 2, v11
	v_add3_u32 v13, v10, v13, 1
	s_waitcnt vmcnt(0)
	v_lshlrev_b32_e32 v12, 2, v12
	v_add3_u32 v11, s50, v12, v11
	ds_write_b32 v11, v13
	s_branch .LBB28_76
.LBB28_79:                              ;   in Loop: Header=BB28_64 Depth=1
	s_or_b64 exec, exec, s[16:17]
	s_waitcnt lgkmcnt(0)
	s_barrier
	s_and_saveexec_b64 s[38:39], s[2:3]
	s_cbranch_execz .LBB28_63
; %bb.80:                               ;   in Loop: Header=BB28_64 Depth=1
	s_mov_b64 s[42:43], 0
	v_mov_b32_e32 v8, v21
	v_mov_b32_e32 v9, v14
	s_branch .LBB28_83
.LBB28_81:                              ;   in Loop: Header=BB28_83 Depth=2
	s_or_b64 exec, exec, s[46:47]
.LBB28_82:                              ;   in Loop: Header=BB28_83 Depth=2
	s_or_b64 exec, exec, s[44:45]
	v_add_u32_e32 v9, 32, v9
	v_cmp_le_i32_e64 s[14:15], s36, v9
	s_or_b64 s[42:43], s[14:15], s[42:43]
	v_add_u32_e32 v8, 0x80, v8
	s_waitcnt lgkmcnt(0)
	ds_write_b32 v10, v11
	s_andn2_b64 exec, exec, s[42:43]
	s_cbranch_execz .LBB28_63
.LBB28_83:                              ;   Parent Loop BB28_64 Depth=1
                                        ; =>  This Loop Header: Depth=2
                                        ;       Child Loop BB28_86 Depth 3
	v_lshl_add_u32 v10, v9, 2, 0
	ds_read_b32 v11, v10
	s_and_saveexec_b64 s[44:45], s[6:7]
	s_cbranch_execz .LBB28_82
; %bb.84:                               ;   in Loop: Header=BB28_83 Depth=2
	s_mov_b64 s[46:47], 0
	v_mov_b32_e32 v12, v8
	v_mov_b32_e32 v13, v20
	;; [unrolled: 1-line block ×3, first 2 shown]
	s_branch .LBB28_86
.LBB28_85:                              ;   in Loop: Header=BB28_86 Depth=3
	s_or_b64 exec, exec, s[16:17]
	ds_bpermute_b32 v24, v17, v24
	v_add_u32_e32 v23, 8, v23
	v_cmp_le_i32_e64 s[14:15], s37, v23
	v_add_u32_e32 v13, s29, v13
	s_or_b64 s[46:47], s[14:15], s[46:47]
	s_waitcnt lgkmcnt(0)
	v_add_u32_e32 v11, v24, v11
	v_add_u32_e32 v12, s63, v12
	s_andn2_b64 exec, exec, s[46:47]
	s_cbranch_execz .LBB28_81
.LBB28_86:                              ;   Parent Loop BB28_64 Depth=1
                                        ;     Parent Loop BB28_83 Depth=2
                                        ; =>    This Inner Loop Header: Depth=3
	ds_read_b32 v25, v12
	s_waitcnt lgkmcnt(0)
	v_cmp_ne_u32_e64 s[14:15], 0, v25
	v_cndmask_b32_e64 v24, 0, 1, s[14:15]
	s_nop 1
	v_mov_b32_dpp v24, v24 row_shr:1 row_mask:0xf bank_mask:0xf bound_ctrl:1
	v_addc_co_u32_e64 v26, s[16:17], 0, v24, s[14:15]
	s_nop 1
	v_mov_b32_dpp v26, v26 row_shr:2 row_mask:0xf bank_mask:0xf bound_ctrl:1
	v_addc_co_u32_e64 v24, s[16:17], v26, v24, s[14:15]
	s_nop 1
	v_add_u32_dpp v24, v24, v24 row_shr:4 row_mask:0xf bank_mask:0xf bound_ctrl:1
	s_nop 1
	v_add_u32_dpp v24, v24, v24 row_shr:8 row_mask:0xf bank_mask:0xf bound_ctrl:1
	s_nop 1
	v_mov_b32_dpp v26, v24 row_newbcast:7 row_mask:0xf bank_mask:0xf bound_ctrl:1
	v_cndmask_b32_e64 v26, v26, 0, s[8:9]
	v_sub_u32_e32 v24, v24, v26
	s_and_saveexec_b64 s[16:17], s[14:15]
	s_cbranch_execz .LBB28_85
; %bb.87:                               ;   in Loop: Header=BB28_86 Depth=3
	v_add_u32_e32 v26, v13, v25
	v_ashrrev_i32_e32 v27, 31, v26
	v_lshlrev_b64 v[26:27], 2, v[26:27]
	v_mov_b32_e32 v28, s58
	v_add_co_u32_e64 v26, s[14:15], s57, v26
	v_addc_co_u32_e64 v27, s[14:15], v28, v27, s[14:15]
	global_load_dword v30, v[26:27], off
	v_add_u32_e32 v26, s65, v23
	v_perm_b32 v25, v25, v26, s64
	v_add_u32_e32 v26, v24, v11
	v_ashrrev_i32_e32 v27, 31, v26
	v_lshlrev_b64 v[26:27], 2, v[26:27]
	v_mov_b32_e32 v29, s56
	v_add_co_u32_e64 v28, s[14:15], s55, v26
	v_add_u32_e32 v25, 0xff000000, v25
	v_addc_co_u32_e64 v29, s[14:15], v29, v27, s[14:15]
	global_store_dword v[28:29], v25, off
	v_mov_b32_e32 v25, s60
	v_add_co_u32_e64 v26, s[14:15], s59, v26
	v_addc_co_u32_e64 v27, s[14:15], v25, v27, s[14:15]
	s_waitcnt vmcnt(1)
	global_store_dword v[26:27], v30, off
	s_branch .LBB28_85
.LBB28_88:
	s_and_saveexec_b64 s[0:1], s[4:5]
	s_cbranch_execz .LBB28_99
; %bb.89:
	s_and_b32 s0, s33, 0xffffff
	s_lshl_b32 s1, s28, 24
	s_or_b32 s4, s0, s1
	s_mov_b32 s5, s4
	s_add_i32 s52, s52, 4
	s_mov_b64 s[2:3], 0
	s_mov_b32 s8, 0
	v_mov_b32_e32 v1, 0
	s_branch .LBB28_91
.LBB28_90:                              ;   in Loop: Header=BB28_91 Depth=1
	s_or_b64 exec, exec, s[12:13]
	v_add_u32_e32 v0, 0x100, v0
	v_cmp_le_i32_e32 vcc, s36, v0
	s_or_b64 s[2:3], vcc, s[2:3]
	s_andn2_b64 exec, exec, s[2:3]
	s_cbranch_execz .LBB28_99
.LBB28_91:                              ; =>This Loop Header: Depth=1
                                        ;     Child Loop BB28_94 Depth 2
                                        ;     Child Loop BB28_98 Depth 2
	v_lshlrev_b32_e32 v2, 2, v0
	v_add_u32_e32 v3, 0, v2
	v_add_u32_e32 v4, s52, v2
	ds_read_b32 v2, v3
	ds_read_b32 v8, v4
	s_waitcnt lgkmcnt(0)
	v_cmp_gt_i32_e32 vcc, v8, v2
	s_and_saveexec_b64 s[12:13], vcc
	s_cbranch_execz .LBB28_90
; %bb.92:                               ;   in Loop: Header=BB28_91 Depth=1
	v_sub_u32_e32 v3, v8, v2
	v_cmp_lt_u32_e32 vcc, 15, v3
	s_mov_b64 s[6:7], -1
	s_and_saveexec_b64 s[0:1], vcc
	s_cbranch_execz .LBB28_96
; %bb.93:                               ;   in Loop: Header=BB28_91 Depth=1
	v_and_b32_e32 v6, -16, v3
	s_mov_b64 s[14:15], 0
	v_mov_b32_e32 v4, v2
	v_mov_b32_e32 v7, v6
.LBB28_94:                              ;   Parent Loop BB28_91 Depth=1
                                        ; =>  This Inner Loop Header: Depth=2
	v_ashrrev_i32_e32 v5, 31, v4
	v_lshlrev_b64 v[14:15], 2, v[4:5]
	v_mov_b32_e32 v5, s19
	v_add_co_u32_e32 v16, vcc, s18, v14
	v_addc_co_u32_e32 v17, vcc, v5, v15, vcc
	s_mov_b32 s6, s4
	s_mov_b32 s7, s5
	v_pk_mov_b32 v[12:13], s[6:7], s[6:7] op_sel:[0,1]
	v_mov_b32_e32 v5, s21
	v_add_co_u32_e32 v14, vcc, s20, v14
	v_pk_mov_b32 v[10:11], s[4:5], s[4:5] op_sel:[0,1]
	v_addc_co_u32_e32 v15, vcc, v5, v15, vcc
	s_mov_b32 s10, s8
	s_mov_b32 s11, s8
	v_add_u32_e32 v7, -16, v7
	global_store_dwordx4 v[16:17], v[10:13], off
	global_store_dwordx4 v[16:17], v[10:13], off offset:16
	global_store_dwordx4 v[16:17], v[10:13], off offset:32
	;; [unrolled: 1-line block ×3, first 2 shown]
	s_mov_b32 s9, s8
	v_pk_mov_b32 v[12:13], s[10:11], s[10:11] op_sel:[0,1]
	v_cmp_eq_u32_e32 vcc, 0, v7
	v_pk_mov_b32 v[10:11], s[8:9], s[8:9] op_sel:[0,1]
	s_or_b64 s[14:15], vcc, s[14:15]
	v_add_u32_e32 v4, 16, v4
	global_store_dwordx4 v[14:15], v[10:13], off
	global_store_dwordx4 v[14:15], v[10:13], off offset:16
	global_store_dwordx4 v[14:15], v[10:13], off offset:32
	;; [unrolled: 1-line block ×3, first 2 shown]
	s_andn2_b64 exec, exec, s[14:15]
	s_cbranch_execnz .LBB28_94
; %bb.95:                               ;   in Loop: Header=BB28_91 Depth=1
	s_or_b64 exec, exec, s[14:15]
	v_cmp_ne_u32_e32 vcc, v3, v6
	v_add_u32_e32 v2, v2, v6
	s_orn2_b64 s[6:7], vcc, exec
.LBB28_96:                              ;   in Loop: Header=BB28_91 Depth=1
	s_or_b64 exec, exec, s[0:1]
	s_and_b64 exec, exec, s[6:7]
	s_cbranch_execz .LBB28_90
; %bb.97:                               ;   in Loop: Header=BB28_91 Depth=1
	v_ashrrev_i32_e32 v3, 31, v2
	v_lshlrev_b64 v[6:7], 2, v[2:3]
	v_mov_b32_e32 v3, s19
	v_add_co_u32_e32 v4, vcc, s18, v6
	v_addc_co_u32_e32 v5, vcc, v3, v7, vcc
	v_mov_b32_e32 v3, s21
	v_add_co_u32_e32 v6, vcc, s20, v6
	v_addc_co_u32_e32 v7, vcc, v3, v7, vcc
	s_mov_b64 s[6:7], 0
.LBB28_98:                              ;   Parent Loop BB28_91 Depth=1
                                        ; =>  This Inner Loop Header: Depth=2
	global_store_dword v[6:7], v1, off
	v_add_co_u32_e32 v6, vcc, 4, v6
	v_mov_b32_e32 v3, s4
	v_add_u32_e32 v2, 1, v2
	v_addc_co_u32_e32 v7, vcc, 0, v7, vcc
	global_store_dword v[4:5], v3, off
	v_cmp_ge_i32_e32 vcc, v2, v8
	v_add_co_u32_e64 v4, s[0:1], 4, v4
	s_or_b64 s[6:7], vcc, s[6:7]
	v_addc_co_u32_e64 v5, vcc, 0, v5, s[0:1]
	s_andn2_b64 exec, exec, s[6:7]
	s_cbranch_execnz .LBB28_98
	s_branch .LBB28_90
.LBB28_99:
	s_endpgm
	.section	.rodata,"a",@progbits
	.p2align	6, 0x0
	.amdhsa_kernel _ZN5aiter22opus_moe_sorting_entryINS_16MoeSortingKernelINS_19MoeSortingProblemExIifLi1ELb0ELb0ELb1ELb1ELi0EEEEENS4_5KargsEEEvT0_
		.amdhsa_group_segment_fixed_size 0
		.amdhsa_private_segment_fixed_size 0
		.amdhsa_kernarg_size 400
		.amdhsa_user_sgpr_count 6
		.amdhsa_user_sgpr_private_segment_buffer 1
		.amdhsa_user_sgpr_dispatch_ptr 0
		.amdhsa_user_sgpr_queue_ptr 0
		.amdhsa_user_sgpr_kernarg_segment_ptr 1
		.amdhsa_user_sgpr_dispatch_id 0
		.amdhsa_user_sgpr_flat_scratch_init 0
		.amdhsa_user_sgpr_kernarg_preload_length 0
		.amdhsa_user_sgpr_kernarg_preload_offset 0
		.amdhsa_user_sgpr_private_segment_size 0
		.amdhsa_uses_dynamic_stack 0
		.amdhsa_system_sgpr_private_segment_wavefront_offset 0
		.amdhsa_system_sgpr_workgroup_id_x 1
		.amdhsa_system_sgpr_workgroup_id_y 0
		.amdhsa_system_sgpr_workgroup_id_z 0
		.amdhsa_system_sgpr_workgroup_info 0
		.amdhsa_system_vgpr_workitem_id 0
		.amdhsa_next_free_vgpr 31
		.amdhsa_next_free_sgpr 66
		.amdhsa_accum_offset 32
		.amdhsa_reserve_vcc 1
		.amdhsa_reserve_flat_scratch 0
		.amdhsa_float_round_mode_32 0
		.amdhsa_float_round_mode_16_64 0
		.amdhsa_float_denorm_mode_32 3
		.amdhsa_float_denorm_mode_16_64 3
		.amdhsa_dx10_clamp 1
		.amdhsa_ieee_mode 1
		.amdhsa_fp16_overflow 0
		.amdhsa_tg_split 0
		.amdhsa_exception_fp_ieee_invalid_op 0
		.amdhsa_exception_fp_denorm_src 0
		.amdhsa_exception_fp_ieee_div_zero 0
		.amdhsa_exception_fp_ieee_overflow 0
		.amdhsa_exception_fp_ieee_underflow 0
		.amdhsa_exception_fp_ieee_inexact 0
		.amdhsa_exception_int_div_zero 0
	.end_amdhsa_kernel
	.section	.text._ZN5aiter22opus_moe_sorting_entryINS_16MoeSortingKernelINS_19MoeSortingProblemExIifLi1ELb0ELb0ELb1ELb1ELi0EEEEENS4_5KargsEEEvT0_,"axG",@progbits,_ZN5aiter22opus_moe_sorting_entryINS_16MoeSortingKernelINS_19MoeSortingProblemExIifLi1ELb0ELb0ELb1ELb1ELi0EEEEENS4_5KargsEEEvT0_,comdat
.Lfunc_end28:
	.size	_ZN5aiter22opus_moe_sorting_entryINS_16MoeSortingKernelINS_19MoeSortingProblemExIifLi1ELb0ELb0ELb1ELb1ELi0EEEEENS4_5KargsEEEvT0_, .Lfunc_end28-_ZN5aiter22opus_moe_sorting_entryINS_16MoeSortingKernelINS_19MoeSortingProblemExIifLi1ELb0ELb0ELb1ELb1ELi0EEEEENS4_5KargsEEEvT0_
                                        ; -- End function
	.section	.AMDGPU.csdata,"",@progbits
; Kernel info:
; codeLenInByte = 4220
; NumSgprs: 70
; NumVgprs: 31
; NumAgprs: 0
; TotalNumVgprs: 31
; ScratchSize: 0
; MemoryBound: 0
; FloatMode: 240
; IeeeMode: 1
; LDSByteSize: 0 bytes/workgroup (compile time only)
; SGPRBlocks: 8
; VGPRBlocks: 3
; NumSGPRsForWavesPerEU: 70
; NumVGPRsForWavesPerEU: 31
; AccumOffset: 32
; Occupancy: 8
; WaveLimiterHint : 1
; COMPUTE_PGM_RSRC2:SCRATCH_EN: 0
; COMPUTE_PGM_RSRC2:USER_SGPR: 6
; COMPUTE_PGM_RSRC2:TRAP_HANDLER: 0
; COMPUTE_PGM_RSRC2:TGID_X_EN: 1
; COMPUTE_PGM_RSRC2:TGID_Y_EN: 0
; COMPUTE_PGM_RSRC2:TGID_Z_EN: 0
; COMPUTE_PGM_RSRC2:TIDIG_COMP_CNT: 0
; COMPUTE_PGM_RSRC3_GFX90A:ACCUM_OFFSET: 7
; COMPUTE_PGM_RSRC3_GFX90A:TG_SPLIT: 0
	.section	.text._ZN5aiter22opus_moe_sorting_entryINS_16MoeSortingKernelINS_19MoeSortingProblemExIifLi8ELb0ELb0ELb0ELb1ELi0EEEEENS4_5KargsEEEvT0_,"axG",@progbits,_ZN5aiter22opus_moe_sorting_entryINS_16MoeSortingKernelINS_19MoeSortingProblemExIifLi8ELb0ELb0ELb0ELb1ELi0EEEEENS4_5KargsEEEvT0_,comdat
	.protected	_ZN5aiter22opus_moe_sorting_entryINS_16MoeSortingKernelINS_19MoeSortingProblemExIifLi8ELb0ELb0ELb0ELb1ELi0EEEEENS4_5KargsEEEvT0_ ; -- Begin function _ZN5aiter22opus_moe_sorting_entryINS_16MoeSortingKernelINS_19MoeSortingProblemExIifLi8ELb0ELb0ELb0ELb1ELi0EEEEENS4_5KargsEEEvT0_
	.globl	_ZN5aiter22opus_moe_sorting_entryINS_16MoeSortingKernelINS_19MoeSortingProblemExIifLi8ELb0ELb0ELb0ELb1ELi0EEEEENS4_5KargsEEEvT0_
	.p2align	8
	.type	_ZN5aiter22opus_moe_sorting_entryINS_16MoeSortingKernelINS_19MoeSortingProblemExIifLi8ELb0ELb0ELb0ELb1ELi0EEEEENS4_5KargsEEEvT0_,@function
_ZN5aiter22opus_moe_sorting_entryINS_16MoeSortingKernelINS_19MoeSortingProblemExIifLi8ELb0ELb0ELb0ELb1ELi0EEEEENS4_5KargsEEEvT0_: ; @_ZN5aiter22opus_moe_sorting_entryINS_16MoeSortingKernelINS_19MoeSortingProblemExIifLi8ELb0ELb0ELb0ELb1ELi0EEEEENS4_5KargsEEEvT0_
; %bb.0:
	s_load_dwordx8 s[20:27], s[4:5], 0x20
	s_load_dwordx8 s[36:43], s[4:5], 0x40
	s_cmp_eq_u32 s6, 0
	s_cbranch_scc1 .LBB29_7
; %bb.1:
	s_waitcnt lgkmcnt(0)
	s_cmp_eq_u64 s[36:37], 0
	s_mov_b64 s[2:3], 0
	s_cbranch_scc1 .LBB29_6
; %bb.2:
	s_mul_i32 s1, s42, s40
	s_ashr_i32 s7, s43, 31
	s_mul_hi_i32 s0, s42, s40
	s_mul_i32 s7, s1, s7
	s_mul_hi_u32 s8, s1, s43
	s_add_i32 s7, s8, s7
	s_mul_i32 s0, s0, s43
	s_add_i32 s8, s7, s0
	s_ashr_i32 s0, s8, 31
	s_mul_i32 s1, s1, s43
	s_lshr_b32 s0, s0, 28
	s_add_u32 s0, s1, s0
	s_addc_u32 s1, s8, 0
	v_lshl_add_u32 v1, s6, 8, v0
	s_ashr_i64 s[8:9], s[0:1], 4
	v_add_u32_e32 v2, 0xffffff00, v1
	v_mov_b32_e32 v3, 0
	s_mov_b32 s7, 0
	v_cmp_gt_i64_e32 vcc, s[8:9], v[2:3]
	s_and_saveexec_b64 s[10:11], vcc
	s_cbranch_execz .LBB29_5
; %bb.3:
	s_load_dword s0, s[4:5], 0x90
	v_lshlrev_b64 v[4:5], 4, v[2:3]
	v_mov_b32_e32 v1, s37
	v_add_co_u32_e32 v8, vcc, s36, v4
	s_waitcnt lgkmcnt(0)
	s_lshl_b32 s0, s0, 8
	s_add_i32 s6, s0, 0xffffff00
	s_lshl_b64 s[12:13], s[6:7], 4
	v_pk_mov_b32 v[6:7], v[2:3], v[2:3] op_sel:[0,1]
	v_addc_co_u32_e32 v9, vcc, v1, v5, vcc
	s_mov_b64 s[14:15], 0
	v_mov_b32_e32 v2, v3
	v_mov_b32_e32 v4, v3
	;; [unrolled: 1-line block ×5, first 2 shown]
.LBB29_4:                               ; =>This Inner Loop Header: Depth=1
	v_add_co_u32_e32 v6, vcc, s6, v6
	v_addc_co_u32_e32 v7, vcc, v7, v1, vcc
	global_store_dwordx4 v[8:9], v[2:5], off
	v_add_co_u32_e32 v8, vcc, s12, v8
	v_cmp_le_i64_e64 s[0:1], s[8:9], v[6:7]
	s_or_b64 s[14:15], s[0:1], s[14:15]
	v_addc_co_u32_e32 v9, vcc, v9, v10, vcc
	s_andn2_b64 exec, exec, s[14:15]
	s_cbranch_execnz .LBB29_4
.LBB29_5:
	s_or_b64 exec, exec, s[10:11]
.LBB29_6:
	s_andn2_b64 vcc, exec, s[2:3]
	s_cbranch_vccz .LBB29_8
	s_branch .LBB29_99
.LBB29_7:
.LBB29_8:
	s_load_dwordx8 s[44:51], s[4:5], 0x64
	s_load_dwordx4 s[28:31], s[4:5], 0x0
	s_load_dwordx2 s[18:19], s[4:5], 0x84
	v_lshrrev_b32_e32 v1, 6, v0
	v_readfirstlane_b32 s16, v1
	s_waitcnt lgkmcnt(0)
	s_add_i32 s33, s44, -2
	s_mul_i32 s53, s33, s41
	s_add_i32 s52, s41, 1
	v_cmp_gt_i32_e64 s[0:1], s53, v0
	v_xad_u32 v8, v0, -1, s53
	s_and_saveexec_b64 s[2:3], s[0:1]
	s_cbranch_execz .LBB29_18
; %bb.9:
	s_movk_i32 s6, 0xff
	s_mov_b32 s5, 0
	s_mov_b32 s4, s18
	s_sub_i32 s10, s52, s51
	v_cmp_lt_u32_e32 vcc, s6, v8
	s_mov_b64 s[8:9], 0
                                        ; implicit-def: $vgpr1
                                        ; implicit-def: $sgpr11
	s_and_saveexec_b64 s[6:7], vcc
	s_xor_b64 s[6:7], exec, s[6:7]
	s_cbranch_execnz .LBB29_12
; %bb.10:
	s_or_saveexec_b64 s[6:7], s[6:7]
	v_mov_b32_e32 v2, s11
	s_xor_b64 exec, exec, s[6:7]
	s_cbranch_execnz .LBB29_15
.LBB29_11:
	s_or_b64 exec, exec, s[6:7]
	s_and_b64 exec, exec, s[8:9]
	s_cbranch_execnz .LBB29_16
	s_branch .LBB29_18
.LBB29_12:
	v_lshrrev_b32_e32 v1, 8, v8
	v_add_u32_e32 v4, 1, v1
	s_lshl_b32 s11, s41, 3
	v_and_b32_e32 v5, 0x1fffffe, v4
	v_add_u32_e32 v1, 0x100, v0
	s_add_i32 s8, s11, 0
	s_mov_b32 s12, s4
	s_mov_b32 s13, s19
	;; [unrolled: 1-line block ×4, first 2 shown]
	v_lshl_add_u32 v6, v0, 2, s8
	s_mov_b64 s[8:9], 0
	v_mov_b32_e32 v7, 0
	v_mov_b32_e32 v9, v5
	v_pk_mov_b32 v[2:3], v[0:1], v[0:1] op_sel:[0,1]
.LBB29_13:                              ; =>This Inner Loop Header: Depth=1
	v_mul_hi_u32 v1, s4, v2
	v_mul_hi_u32 v10, s12, v3
	v_add_u32_e32 v10, v3, v10
	v_add_u32_e32 v1, v2, v1
	v_add_u32_e32 v9, -2, v9
	v_lshrrev_b32_e32 v1, s13, v1
	v_lshrrev_b32_e32 v10, s14, v10
	v_cmp_eq_u32_e32 vcc, 0, v9
	v_mul_lo_u32 v10, v10, s15
	v_mul_lo_u32 v1, v1, s10
	v_add_u32_e32 v3, 0x200, v3
	v_add_u32_e32 v2, 0x200, v2
	s_or_b64 s[8:9], vcc, s[8:9]
	v_lshl_add_u32 v1, v1, 2, v6
	v_lshl_add_u32 v10, v10, 2, v6
	v_add_u32_e32 v6, 0x800, v6
	ds_write_b32 v1, v7 offset:8
	ds_write_b32 v10, v7 offset:1032
	s_andn2_b64 exec, exec, s[8:9]
	s_cbranch_execnz .LBB29_13
; %bb.14:
	s_or_b64 exec, exec, s[8:9]
	v_cmp_ne_u32_e32 vcc, v4, v5
	v_lshl_add_u32 v1, v5, 8, v0
	s_and_b64 s[8:9], vcc, exec
	s_or_saveexec_b64 s[6:7], s[6:7]
	v_mov_b32_e32 v2, s11
	s_xor_b64 exec, exec, s[6:7]
	s_cbranch_execz .LBB29_11
.LBB29_15:
	s_lshl_b32 s11, s41, 3
	v_mov_b32_e32 v2, s11
	s_or_b64 s[8:9], s[8:9], exec
	v_mov_b32_e32 v1, v0
	s_or_b64 exec, exec, s[6:7]
	s_and_b64 exec, exec, s[8:9]
	s_cbranch_execz .LBB29_18
.LBB29_16:
	v_lshl_add_u32 v2, v1, 2, v2
	v_mad_u64_u32 v[4:5], s[6:7], v1, s4, 0
	s_lshl_b64 s[4:5], s[4:5], 8
	s_lshl_b32 s8, s10, 2
	v_add3_u32 v2, v2, 0, 8
	s_mov_b64 s[6:7], 0
	v_mov_b32_e32 v3, 0
	v_mov_b32_e32 v6, s5
.LBB29_17:                              ; =>This Inner Loop Header: Depth=1
	v_add_co_u32_e32 v4, vcc, s4, v4
	v_add_u32_e32 v7, v1, v5
	v_add_u32_e32 v1, 0x100, v1
	v_addc_co_u32_e32 v5, vcc, v5, v6, vcc
	v_lshrrev_b32_e32 v7, s19, v7
	v_cmp_le_i32_e32 vcc, s53, v1
	v_mad_u64_u32 v[10:11], s[10:11], s8, v7, v[2:3]
	v_add_u32_e32 v2, 0x400, v2
	s_or_b64 s[6:7], vcc, s[6:7]
	ds_write_b32 v10, v3
	s_andn2_b64 exec, exec, s[6:7]
	s_cbranch_execnz .LBB29_17
.LBB29_18:
	s_or_b64 exec, exec, s[2:3]
	s_lshl_b32 s2, s52, 3
	s_add_i32 s54, s2, 0
	s_cmp_gt_i32 s40, 0
	s_mul_i32 s55, s48, s33
	s_mov_b32 s5, 0
	s_cselect_b64 s[10:11], -1, 0
	s_cmp_lt_i32 s40, 1
	v_cmp_gt_i32_e32 vcc, s55, v0
	s_waitcnt lgkmcnt(0)
	s_barrier
	s_cbranch_scc1 .LBB29_26
; %bb.19:
	s_mov_b32 s4, s49
	v_mad_u64_u32 v[2:3], s[2:3], v0, s49, 0
	s_lshl_b64 s[6:7], s[4:5], 8
	v_mov_b32_e32 v5, 0
	s_mov_b32 s4, 0
	s_branch .LBB29_21
.LBB29_20:                              ;   in Loop: Header=BB29_21 Depth=1
	s_or_b64 exec, exec, s[8:9]
	s_add_i32 s4, s4, s33
	s_add_i32 s5, s5, s55
	s_cmp_ge_i32 s4, s40
	s_barrier
	s_cbranch_scc1 .LBB29_26
.LBB29_21:                              ; =>This Loop Header: Depth=1
                                        ;     Child Loop BB29_24 Depth 2
	s_and_saveexec_b64 s[8:9], vcc
	s_cbranch_execz .LBB29_20
; %bb.22:                               ;   in Loop: Header=BB29_21 Depth=1
	s_mov_b64 s[12:13], 0
	v_pk_mov_b32 v[6:7], v[2:3], v[2:3] op_sel:[0,1]
	v_mov_b32_e32 v1, v0
	s_branch .LBB29_24
.LBB29_23:                              ;   in Loop: Header=BB29_24 Depth=2
	s_or_b64 exec, exec, s[14:15]
	v_add_u32_e32 v1, 0x100, v1
	v_cmp_le_i32_e64 s[2:3], s55, v1
	v_mov_b32_e32 v4, s7
	s_or_b64 s[12:13], s[2:3], s[12:13]
	v_add_co_u32_e64 v6, s[2:3], s6, v6
	v_addc_co_u32_e64 v7, s[2:3], v7, v4, s[2:3]
	s_waitcnt lgkmcnt(0)
	s_andn2_b64 exec, exec, s[12:13]
	s_cbranch_execz .LBB29_20
.LBB29_24:                              ;   Parent Loop BB29_21 Depth=1
                                        ; =>  This Inner Loop Header: Depth=2
	v_add_u32_e32 v4, v1, v7
	v_lshrrev_b32_e32 v9, s50, v4
	v_add_u32_e32 v4, s4, v9
	v_cmp_gt_i32_e64 s[2:3], s40, v4
	s_and_saveexec_b64 s[14:15], s[2:3]
	s_cbranch_execz .LBB29_23
; %bb.25:                               ;   in Loop: Header=BB29_24 Depth=2
	v_add_u32_e32 v4, s5, v1
	v_lshlrev_b64 v[10:11], 2, v[4:5]
	v_mov_b32_e32 v4, s29
	v_add_co_u32_e64 v10, s[2:3], s28, v10
	v_addc_co_u32_e64 v11, s[2:3], v4, v11, s[2:3]
	global_load_dword v4, v[10:11], off
	v_mul_lo_u32 v9, v9, s52
	v_lshlrev_b32_e32 v9, 2, v9
	s_waitcnt vmcnt(0)
	v_lshlrev_b32_e32 v4, 2, v4
	v_add3_u32 v4, s54, v4, v9
	ds_read_b32 v9, v4
	s_waitcnt lgkmcnt(0)
	v_add_u32_e32 v9, 1, v9
	ds_write_b32 v4, v9
	s_branch .LBB29_23
.LBB29_26:
	v_cmp_eq_u32_e32 vcc, 0, v0
	s_and_saveexec_b64 s[2:3], vcc
	s_cbranch_execz .LBB29_28
; %bb.27:
	v_mov_b32_e32 v1, 0
	ds_write_b32 v1, v1
.LBB29_28:
	s_or_b64 exec, exec, s[2:3]
	v_mbcnt_lo_u32_b32 v1, -1, 0
	v_and_b32_e32 v15, 7, v0
	v_mbcnt_hi_u32_b32 v11, -1, v1
	v_lshrrev_b32_e32 v14, 3, v0
	v_mul_lo_u32 v1, s52, v15
	v_cmp_gt_i32_e64 s[2:3], s41, v14
	v_lshlrev_b32_e32 v9, 2, v1
	v_lshlrev_b32_e32 v10, 2, v14
	s_and_saveexec_b64 s[8:9], s[2:3]
	s_cbranch_execz .LBB29_36
; %bb.29:
	s_cmp_gt_i32 s44, 2
	s_cselect_b64 s[6:7], -1, 0
	s_lshl_b32 s12, s41, 3
	v_lshlrev_b32_e32 v3, 2, v11
	v_add3_u32 v4, v9, s12, v10
	s_lshl_b32 s17, s41, 8
	s_lshl_b32 s34, s41, 5
	v_cndmask_b32_e64 v5, 0, 1, s[6:7]
	v_xor_b32_e32 v1, 4, v3
	v_xor_b32_e32 v2, 8, v3
	;; [unrolled: 1-line block ×3, first 2 shown]
	v_cmp_eq_u32_e64 s[4:5], 0, v15
	v_add3_u32 v4, v4, 0, 8
	s_addk_i32 s17, 0x100
	s_add_i32 s35, s34, 32
	s_mov_b64 s[12:13], 0
	v_cmp_ne_u32_e64 s[6:7], 1, v5
	v_mov_b32_e32 v5, v14
	s_branch .LBB29_31
.LBB29_30:                              ;   in Loop: Header=BB29_31 Depth=1
	s_or_b64 exec, exec, s[14:15]
	v_add_u32_e32 v5, 32, v5
	v_cmp_le_i32_e32 vcc, s41, v5
	s_or_b64 s[12:13], vcc, s[12:13]
	v_add_u32_e32 v4, 0x80, v4
	s_andn2_b64 exec, exec, s[12:13]
	s_cbranch_execz .LBB29_36
.LBB29_31:                              ; =>This Loop Header: Depth=1
                                        ;     Child Loop BB29_33 Depth 2
	s_and_b64 vcc, exec, s[6:7]
	v_mov_b32_e32 v6, 0
	s_cbranch_vccnz .LBB29_34
; %bb.32:                               ;   in Loop: Header=BB29_31 Depth=1
	s_mov_b32 s14, 0
	v_mov_b32_e32 v6, 0
	v_mov_b32_e32 v7, v4
.LBB29_33:                              ;   Parent Loop BB29_31 Depth=1
                                        ; =>  This Inner Loop Header: Depth=2
	ds_read_b32 v12, v7
	v_add_u32_e32 v13, s34, v7
	v_add_u32_e32 v16, s35, v13
	ds_read_b32 v13, v13 offset:32
	v_add_u32_e32 v17, s35, v16
	ds_read_b32 v16, v16 offset:32
	;; [unrolled: 2-line block ×4, first 2 shown]
	ds_read_b32 v20, v19 offset:32
	v_add_u32_e32 v19, s35, v19
	s_waitcnt lgkmcnt(5)
	ds_bpermute_b32 v21, v1, v12
	ds_read_b32 v22, v19 offset:32
	v_add_u32_e32 v19, s35, v19
	s_waitcnt lgkmcnt(6)
	ds_bpermute_b32 v23, v1, v13
	ds_read_b32 v19, v19 offset:32
	s_waitcnt lgkmcnt(7)
	ds_bpermute_b32 v24, v1, v16
	s_waitcnt lgkmcnt(7)
	ds_bpermute_b32 v25, v1, v17
	;; [unrolled: 2-line block ×3, first 2 shown]
	s_waitcnt lgkmcnt(6)
	v_add_u32_e32 v12, v21, v12
	ds_bpermute_b32 v21, v1, v20
	ds_bpermute_b32 v27, v2, v12
	s_waitcnt lgkmcnt(6)
	v_add_u32_e32 v13, v23, v13
	ds_bpermute_b32 v23, v1, v22
	ds_bpermute_b32 v28, v2, v13
	;; [unrolled: 4-line block ×3, first 2 shown]
	s_waitcnt lgkmcnt(7)
	v_add_u32_e32 v17, v25, v17
	ds_bpermute_b32 v25, v2, v17
	s_waitcnt lgkmcnt(7)
	v_add_u32_e32 v18, v26, v18
	ds_bpermute_b32 v26, v2, v18
	s_waitcnt lgkmcnt(7)
	v_add_u32_e32 v20, v21, v20
	s_waitcnt lgkmcnt(6)
	v_add_u32_e32 v12, v27, v12
	ds_bpermute_b32 v21, v2, v20
	s_waitcnt lgkmcnt(6)
	v_add_u32_e32 v22, v23, v22
	ds_bpermute_b32 v23, v3, v12
	s_waitcnt lgkmcnt(6)
	v_add_u32_e32 v13, v28, v13
	ds_bpermute_b32 v27, v2, v22
	s_waitcnt lgkmcnt(6)
	v_add_u32_e32 v19, v24, v19
	ds_bpermute_b32 v24, v3, v13
	s_waitcnt lgkmcnt(6)
	v_add_u32_e32 v16, v29, v16
	ds_bpermute_b32 v28, v2, v19
	ds_bpermute_b32 v29, v3, v16
	s_waitcnt lgkmcnt(7)
	v_add_u32_e32 v17, v25, v17
	ds_bpermute_b32 v25, v3, v17
	s_waitcnt lgkmcnt(7)
	v_add_u32_e32 v18, v26, v18
	;; [unrolled: 3-line block ×3, first 2 shown]
	s_waitcnt lgkmcnt(6)
	v_add3_u32 v6, v12, v6, v23
	ds_bpermute_b32 v12, v3, v20
	s_waitcnt lgkmcnt(6)
	v_add_u32_e32 v21, v27, v22
	s_waitcnt lgkmcnt(5)
	v_add3_u32 v6, v6, v13, v24
	ds_bpermute_b32 v13, v3, v21
	s_waitcnt lgkmcnt(5)
	v_add_u32_e32 v19, v28, v19
	s_waitcnt lgkmcnt(4)
	v_add3_u32 v6, v6, v16, v29
	ds_bpermute_b32 v16, v3, v19
	s_waitcnt lgkmcnt(4)
	v_add3_u32 v6, v6, v17, v25
	s_waitcnt lgkmcnt(3)
	v_add3_u32 v6, v6, v18, v26
	s_waitcnt lgkmcnt(2)
	v_add3_u32 v6, v6, v20, v12
	s_add_i32 s14, s14, 64
	s_waitcnt lgkmcnt(1)
	v_add3_u32 v6, v6, v21, v13
	v_add_u32_e32 v7, s17, v7
	s_cmp_lt_i32 s14, s33
	s_waitcnt lgkmcnt(0)
	v_add3_u32 v6, v6, v19, v16
	s_cbranch_scc1 .LBB29_33
.LBB29_34:                              ;   in Loop: Header=BB29_31 Depth=1
	s_and_saveexec_b64 s[14:15], s[4:5]
	s_cbranch_execz .LBB29_30
; %bb.35:                               ;   in Loop: Header=BB29_31 Depth=1
	v_lshl_add_u32 v7, v5, 2, 0
	ds_write_b32 v7, v6 offset:4
	s_branch .LBB29_30
.LBB29_36:
	s_or_b64 exec, exec, s[8:9]
	s_cmp_lg_u32 s16, 0
	s_mov_b32 s14, 0
	s_waitcnt lgkmcnt(0)
	s_barrier
	s_cbranch_scc1 .LBB29_45
; %bb.37:
	s_cmp_lt_i32 s41, 1
	v_mov_b32_e32 v2, 0
	s_cbranch_scc1 .LBB29_42
; %bb.38:
	v_lshlrev_b32_e32 v2, 2, v11
	v_and_b32_e32 v3, 0xc0, v2
	v_cmp_eq_u32_e32 vcc, 0, v11
	s_add_i32 s15, s45, -1
	v_add_u32_e32 v1, -4, v3
	v_cmp_lt_u32_e64 s[4:5], 15, v11
	v_add_u32_e32 v3, 0xffffffbc, v3
	v_cmp_lt_u32_e64 s[6:7], 31, v11
	v_add3_u32 v4, v2, 0, 4
	s_branch .LBB29_40
.LBB29_39:                              ;   in Loop: Header=BB29_40 Depth=1
	s_or_b64 exec, exec, s[12:13]
	s_add_i32 s14, s14, 64
	s_cmp_lt_i32 s14, s41
	v_add_u32_e32 v4, 0x100, v4
	s_waitcnt lgkmcnt(0)
	s_cbranch_scc0 .LBB29_42
.LBB29_40:                              ; =>This Inner Loop Header: Depth=1
	ds_read_b32 v5, v4
	v_mov_b32_e32 v2, s14
	v_cndmask_b32_e32 v2, 0, v2, vcc
	v_lshl_add_u32 v2, v2, 2, 0
	ds_read_b32 v2, v2
	s_waitcnt lgkmcnt(1)
	v_add_u32_e32 v5, s15, v5
	v_mul_hi_u32 v6, v5, s46
	v_add_u32_e32 v5, v5, v6
	v_lshrrev_b32_e32 v5, s47, v5
	s_waitcnt lgkmcnt(0)
	v_mad_u64_u32 v[6:7], s[8:9], v5, s45, v[2:3]
	s_nop 1
	v_add_u32_dpp v2, v6, v6 row_shr:1 row_mask:0xf bank_mask:0xf bound_ctrl:1
	v_add_u32_e32 v6, s14, v11
	v_cmp_gt_i32_e64 s[8:9], s41, v6
	v_add_u32_dpp v2, v2, v2 row_shr:2 row_mask:0xf bank_mask:0xf bound_ctrl:1
	s_nop 1
	v_add_u32_dpp v2, v2, v2 row_shr:4 row_mask:0xf bank_mask:0xf bound_ctrl:1
	s_nop 1
	v_add_u32_dpp v2, v2, v2 row_shr:8 row_mask:0xf bank_mask:0xf bound_ctrl:1
	ds_bpermute_b32 v5, v1, v2
	s_waitcnt lgkmcnt(0)
	v_cndmask_b32_e64 v5, 0, v5, s[4:5]
	v_add_u32_e32 v2, v2, v5
	ds_bpermute_b32 v5, v3, v2
	s_waitcnt lgkmcnt(0)
	v_cndmask_b32_e64 v5, 0, v5, s[6:7]
	v_add_u32_e32 v2, v2, v5
	s_and_saveexec_b64 s[12:13], s[8:9]
	s_cbranch_execz .LBB29_39
; %bb.41:                               ;   in Loop: Header=BB29_40 Depth=1
	ds_write_b32 v4, v2
	s_branch .LBB29_39
.LBB29_42:
	v_add_u32_e32 v1, s14, v11
	v_subrev_u32_e32 v1, 63, v1
	v_cmp_eq_u32_e32 vcc, s41, v1
	s_and_saveexec_b64 s[4:5], vcc
	s_cbranch_execz .LBB29_44
; %bb.43:
	v_mov_b32_e32 v1, 0
	v_mov_b32_e32 v3, s40
	global_store_dwordx2 v1, v[2:3], s[26:27]
.LBB29_44:
	s_or_b64 exec, exec, s[4:5]
.LBB29_45:
	s_cmp_eq_u64 s[38:39], 0
	s_barrier
	s_cbranch_scc1 .LBB29_55
; %bb.46:
	s_mul_i32 s14, s48, s40
	v_cmp_gt_i32_e32 vcc, s14, v0
	s_and_saveexec_b64 s[6:7], vcc
	s_cbranch_execz .LBB29_54
; %bb.47:
	v_xad_u32 v1, v0, -1, s14
	s_movk_i32 s4, 0xff
	v_cmp_lt_u32_e32 vcc, s4, v1
	s_mov_b64 s[4:5], -1
	v_mov_b32_e32 v2, v0
	s_and_saveexec_b64 s[8:9], vcc
	s_cbranch_execz .LBB29_51
; %bb.48:
	v_lshrrev_b32_e32 v1, 8, v1
	v_add_u32_e32 v6, 1, v1
	v_and_b32_e32 v7, 0x1fffffe, v6
	v_add_u32_e32 v1, 0x100, v0
	s_mov_b64 s[12:13], 0
	v_mov_b32_e32 v12, s29
	v_mov_b32_e32 v13, s39
	v_mov_b32_e32 v3, 0
	v_mov_b32_e32 v16, v7
	v_pk_mov_b32 v[4:5], v[0:1], v[0:1] op_sel:[0,1]
.LBB29_49:                              ; =>This Inner Loop Header: Depth=1
	v_mov_b32_e32 v2, v4
	v_lshlrev_b64 v[18:19], 2, v[2:3]
	v_mov_b32_e32 v2, v5
	v_add_co_u32_e32 v20, vcc, s28, v18
	v_addc_co_u32_e32 v21, vcc, v12, v19, vcc
	v_lshlrev_b64 v[22:23], 2, v[2:3]
	v_add_co_u32_e32 v24, vcc, s28, v22
	v_addc_co_u32_e32 v25, vcc, v12, v23, vcc
	global_load_dword v1, v[20:21], off
	global_load_dword v2, v[24:25], off
	v_add_u32_e32 v16, -2, v16
	v_cmp_eq_u32_e32 vcc, 0, v16
	v_add_co_u32_e64 v18, s[4:5], s38, v18
	v_add_u32_e32 v4, 0x200, v4
	v_add_u32_e32 v5, 0x200, v5
	v_addc_co_u32_e64 v19, s[4:5], v13, v19, s[4:5]
	s_or_b64 s[12:13], vcc, s[12:13]
	v_add_co_u32_e32 v20, vcc, s38, v22
	v_addc_co_u32_e32 v21, vcc, v13, v23, vcc
	s_waitcnt vmcnt(1)
	global_store_dword v[18:19], v1, off
	s_waitcnt vmcnt(1)
	global_store_dword v[20:21], v2, off
	s_andn2_b64 exec, exec, s[12:13]
	s_cbranch_execnz .LBB29_49
; %bb.50:
	s_or_b64 exec, exec, s[12:13]
	v_cmp_ne_u32_e32 vcc, v6, v7
	v_lshl_add_u32 v2, v7, 8, v0
	s_orn2_b64 s[4:5], vcc, exec
.LBB29_51:
	s_or_b64 exec, exec, s[8:9]
	s_and_b64 exec, exec, s[4:5]
	s_cbranch_execz .LBB29_54
; %bb.52:
	v_mov_b32_e32 v3, 0
	v_lshlrev_b64 v[6:7], 2, v[2:3]
	v_mov_b32_e32 v1, s29
	v_add_co_u32_e32 v4, vcc, s28, v6
	v_addc_co_u32_e32 v5, vcc, v1, v7, vcc
	v_mov_b32_e32 v1, s39
	v_add_co_u32_e32 v6, vcc, s38, v6
	v_addc_co_u32_e32 v7, vcc, v1, v7, vcc
	s_mov_b64 s[4:5], 0
.LBB29_53:                              ; =>This Inner Loop Header: Depth=1
	global_load_dword v1, v[4:5], off
	v_add_co_u32_e32 v4, vcc, 0x400, v4
	v_add_u32_e32 v2, 0x100, v2
	v_addc_co_u32_e32 v5, vcc, 0, v5, vcc
	v_cmp_le_i32_e32 vcc, s14, v2
	s_or_b64 s[4:5], vcc, s[4:5]
	s_waitcnt vmcnt(0)
	global_store_dword v[6:7], v1, off
	v_add_co_u32_e32 v6, vcc, 0x400, v6
	v_addc_co_u32_e32 v7, vcc, 0, v7, vcc
	s_andn2_b64 exec, exec, s[4:5]
	s_cbranch_execnz .LBB29_53
.LBB29_54:
	s_or_b64 exec, exec, s[6:7]
	s_barrier
.LBB29_55:
	s_lshl_b32 s16, s41, 2
	s_add_i32 s17, s16, 0
	s_add_i32 s44, s17, 4
	v_cmp_gt_i32_e64 s[4:5], s41, v0
	s_and_saveexec_b64 s[6:7], s[4:5]
	s_cbranch_execz .LBB29_61
; %bb.56:
	s_mov_b64 s[8:9], 0
	v_mov_b32_e32 v3, 0
	v_mov_b32_e32 v1, v0
	s_branch .LBB29_58
.LBB29_57:                              ;   in Loop: Header=BB29_58 Depth=1
	s_or_b64 exec, exec, s[12:13]
	v_add_u32_e32 v1, 0x100, v1
	v_cmp_le_i32_e32 vcc, s41, v1
	s_or_b64 s[8:9], vcc, s[8:9]
	s_andn2_b64 exec, exec, s[8:9]
	s_cbranch_execz .LBB29_61
.LBB29_58:                              ; =>This Loop Header: Depth=1
                                        ;     Child Loop BB29_60 Depth 2
	v_lshlrev_b32_e32 v2, 2, v1
	v_add_u32_e32 v4, 0, v2
	ds_read2_b32 v[4:5], v4 offset1:1
	v_add_u32_e32 v2, s44, v2
	s_waitcnt lgkmcnt(0)
	v_cmp_lt_i32_e32 vcc, v4, v5
	ds_write_b32 v2, v4
	s_and_saveexec_b64 s[12:13], vcc
	s_cbranch_execz .LBB29_57
; %bb.59:                               ;   in Loop: Header=BB29_58 Depth=1
	s_mov_b64 s[14:15], 0
.LBB29_60:                              ;   Parent Loop BB29_58 Depth=1
                                        ; =>  This Inner Loop Header: Depth=2
	v_mul_hi_u32 v2, s46, v4
	v_add_u32_e32 v2, v4, v2
	v_add_u32_e32 v4, s45, v4
	v_lshrrev_b32_e32 v2, s47, v2
	v_cmp_ge_i32_e32 vcc, v4, v5
	v_lshlrev_b64 v[6:7], 2, v[2:3]
	v_mov_b32_e32 v12, s25
	s_or_b64 s[14:15], vcc, s[14:15]
	v_add_co_u32_e32 v6, vcc, s24, v6
	v_addc_co_u32_e32 v7, vcc, v12, v7, vcc
	global_store_dword v[6:7], v1, off
	s_andn2_b64 exec, exec, s[14:15]
	s_cbranch_execnz .LBB29_60
	s_branch .LBB29_57
.LBB29_61:
	s_or_b64 exec, exec, s[6:7]
	v_mov_b32_e32 v1, s17
	s_waitcnt lgkmcnt(0)
	s_barrier
	ds_read_b32 v1, v1
	s_add_i32 s6, s17, s16
	v_mov_b32_e32 v2, s6
	s_andn2_b64 vcc, exec, s[10:11]
	s_waitcnt lgkmcnt(0)
	ds_write_b32 v2, v1 offset:4
	s_cbranch_vccnz .LBB29_88
; %bb.62:
	s_mov_b32 s24, s18
	s_sub_i32 s18, s52, s51
	s_add_u32 s51, s20, -4
	s_addc_u32 s56, s21, -1
	v_and_b32_e32 v1, 8, v11
	s_add_u32 s57, s30, -4
	v_cmp_eq_u32_e64 s[8:9], 0, v1
	v_lshrrev_b32_e32 v1, 8, v8
	s_addc_u32 s58, s31, -1
	v_add_u32_e32 v3, 1, v1
	s_add_u32 s59, s22, -4
	s_mov_b32 s25, 0
	s_movk_i32 s10, 0xff
	v_and_b32_e32 v18, 0x1fffffe, v3
	s_addc_u32 s60, s23, -1
	s_lshl_b32 s34, s41, 3
	s_mov_b32 s14, s49
	s_mov_b32 s15, s25
	v_lshlrev_b32_e32 v16, 2, v0
	v_cmp_lt_u32_e64 s[10:11], s10, v8
	v_lshl_add_u32 v2, v18, 8, v0
	v_cmp_ne_u32_e64 s[12:13], v3, v18
	s_add_i32 s16, s34, 0
	v_mov_b32_e32 v3, 0
	v_add3_u32 v8, v9, s34, v10
	s_lshl_b32 s63, s41, 5
	v_cmp_gt_i32_e32 vcc, s55, v0
	v_cmp_gt_i32_e64 s[6:7], s33, v15
	v_or_b32_e32 v17, 28, v16
	v_add_u32_e32 v1, 0x100, v0
	s_mov_b32 s45, s24
	s_mov_b32 s46, s19
	;; [unrolled: 1-line block ×3, first 2 shown]
	v_add_u32_e32 v19, s16, v16
	s_lshl_b32 s61, s18, 2
	s_lshl_b64 s[26:27], s[24:25], 8
	s_sub_i32 s62, 0, s48
	v_mov_b32_e32 v4, v0
	v_mov_b32_e32 v5, v3
	v_mad_u64_u32 v[6:7], s[16:17], v0, s49, 0
	s_lshl_b64 s[30:31], s[14:15], 8
	v_mul_lo_u32 v20, s48, v15
	s_lshl_b32 s49, s48, 3
	v_add3_u32 v21, v8, 0, 8
	s_add_i32 s63, s63, 32
	v_lshlrev_b32_e32 v22, 2, v2
	s_mov_b32 s64, 0x4020100
	s_mov_b32 s65, s25
	s_branch .LBB29_64
.LBB29_63:                              ;   in Loop: Header=BB29_64 Depth=1
	s_or_b64 exec, exec, s[34:35]
	s_add_i32 s65, s65, s33
	s_add_i32 s25, s25, s55
	s_cmp_ge_i32 s65, s40
	v_add_u32_e32 v20, s55, v20
	s_waitcnt lgkmcnt(0)
	s_barrier
	s_cbranch_scc1 .LBB29_88
.LBB29_64:                              ; =>This Loop Header: Depth=1
                                        ;     Child Loop BB29_67 Depth 2
                                        ;     Child Loop BB29_73 Depth 2
	;; [unrolled: 1-line block ×4, first 2 shown]
                                        ;       Child Loop BB29_86 Depth 3
	s_and_saveexec_b64 s[16:17], s[0:1]
	s_cbranch_execz .LBB29_74
; %bb.65:                               ;   in Loop: Header=BB29_64 Depth=1
	s_mov_b64 s[14:15], -1
	v_mov_b32_e32 v23, v0
	v_mov_b32_e32 v8, v16
	v_pk_mov_b32 v[12:13], v[4:5], v[4:5] op_sel:[0,1]
	s_and_saveexec_b64 s[34:35], s[10:11]
	s_cbranch_execz .LBB29_71
; %bb.66:                               ;   in Loop: Header=BB29_64 Depth=1
	s_mov_b64 s[36:37], 0
	v_mov_b32_e32 v10, v18
	v_mov_b32_e32 v11, v19
	v_pk_mov_b32 v[8:9], v[0:1], v[0:1] op_sel:[0,1]
.LBB29_67:                              ;   Parent Loop BB29_64 Depth=1
                                        ; =>  This Inner Loop Header: Depth=2
	v_mul_hi_u32 v12, s24, v8
	v_mul_hi_u32 v13, s45, v9
	v_add_u32_e32 v13, v9, v13
	v_add_u32_e32 v12, v8, v12
	v_add_u32_e32 v10, -2, v10
	v_lshrrev_b32_e32 v12, s46, v12
	v_lshrrev_b32_e32 v13, s19, v13
	v_cmp_eq_u32_e64 s[14:15], 0, v10
	v_mul_lo_u32 v13, v13, s47
	v_mul_lo_u32 v12, v12, s18
	v_add_u32_e32 v9, 0x200, v9
	v_add_u32_e32 v8, 0x200, v8
	s_or_b64 s[36:37], s[14:15], s[36:37]
	v_lshl_add_u32 v12, v12, 2, v11
	v_lshl_add_u32 v13, v13, 2, v11
	v_add_u32_e32 v11, 0x800, v11
	ds_write_b32 v12, v3 offset:8
	ds_write_b32 v13, v3 offset:1032
	s_andn2_b64 exec, exec, s[36:37]
	s_cbranch_execnz .LBB29_67
; %bb.68:                               ;   in Loop: Header=BB29_64 Depth=1
	s_or_b64 exec, exec, s[36:37]
	s_mov_b64 s[14:15], 0
                                        ; implicit-def: $vgpr12_vgpr13
	s_and_saveexec_b64 s[36:37], s[12:13]
	s_xor_b64 s[36:37], exec, s[36:37]
; %bb.69:                               ;   in Loop: Header=BB29_64 Depth=1
	s_mov_b64 s[14:15], exec
	v_pk_mov_b32 v[12:13], v[2:3], v[2:3] op_sel:[0,1]
; %bb.70:                               ;   in Loop: Header=BB29_64 Depth=1
	s_or_b64 exec, exec, s[36:37]
	s_orn2_b64 s[14:15], s[14:15], exec
	v_mov_b32_e32 v23, v2
	v_mov_b32_e32 v8, v22
.LBB29_71:                              ;   in Loop: Header=BB29_64 Depth=1
	s_or_b64 exec, exec, s[34:35]
	s_and_b64 exec, exec, s[14:15]
	s_cbranch_execz .LBB29_74
; %bb.72:                               ;   in Loop: Header=BB29_64 Depth=1
	v_mad_u64_u32 v[10:11], s[14:15], s24, v12, 0
	v_mov_b32_e32 v12, v11
	v_mad_u64_u32 v[12:13], s[14:15], s24, v13, v[12:13]
	v_add_u32_e32 v8, s54, v8
	v_mov_b32_e32 v9, v12
	s_mov_b64 s[34:35], 0
.LBB29_73:                              ;   Parent Loop BB29_64 Depth=1
                                        ; =>  This Inner Loop Header: Depth=2
	v_mov_b32_e32 v12, s27
	v_add_co_u32_e64 v10, s[14:15], s26, v10
	v_add_u32_e32 v11, v23, v9
	v_add_u32_e32 v23, 0x100, v23
	v_addc_co_u32_e64 v9, s[14:15], v9, v12, s[14:15]
	v_lshrrev_b32_e32 v11, s19, v11
	v_cmp_le_i32_e64 s[14:15], s53, v23
	v_mad_u64_u32 v[12:13], s[36:37], s61, v11, v[8:9]
	v_add_u32_e32 v8, 0x400, v8
	s_or_b64 s[34:35], s[14:15], s[34:35]
	ds_write_b32 v12, v3
	s_andn2_b64 exec, exec, s[34:35]
	s_cbranch_execnz .LBB29_73
.LBB29_74:                              ;   in Loop: Header=BB29_64 Depth=1
	s_or_b64 exec, exec, s[16:17]
	s_waitcnt lgkmcnt(0)
	s_barrier
	s_and_saveexec_b64 s[16:17], vcc
	s_cbranch_execz .LBB29_79
; %bb.75:                               ;   in Loop: Header=BB29_64 Depth=1
	s_mov_b64 s[34:35], 0
	v_pk_mov_b32 v[8:9], v[6:7], v[6:7] op_sel:[0,1]
	v_mov_b32_e32 v10, v0
	s_branch .LBB29_77
.LBB29_76:                              ;   in Loop: Header=BB29_77 Depth=2
	s_or_b64 exec, exec, s[36:37]
	v_add_u32_e32 v10, 0x100, v10
	v_cmp_le_i32_e64 s[14:15], s55, v10
	v_mov_b32_e32 v11, s31
	s_or_b64 s[34:35], s[14:15], s[34:35]
	v_add_co_u32_e64 v8, s[14:15], s30, v8
	v_addc_co_u32_e64 v9, s[14:15], v9, v11, s[14:15]
	s_andn2_b64 exec, exec, s[34:35]
	s_cbranch_execz .LBB29_79
.LBB29_77:                              ;   Parent Loop BB29_64 Depth=1
                                        ; =>  This Inner Loop Header: Depth=2
	v_add_u32_e32 v11, v10, v9
	v_lshrrev_b32_e32 v11, s50, v11
	v_add_u32_e32 v12, s65, v11
	v_cmp_gt_i32_e64 s[14:15], s40, v12
	s_and_saveexec_b64 s[36:37], s[14:15]
	s_cbranch_execz .LBB29_76
; %bb.78:                               ;   in Loop: Header=BB29_77 Depth=2
	v_add_u32_e32 v12, s25, v10
	v_ashrrev_i32_e32 v13, 31, v12
	v_lshlrev_b64 v[12:13], 2, v[12:13]
	v_mov_b32_e32 v23, s29
	v_add_co_u32_e64 v12, s[14:15], s28, v12
	v_addc_co_u32_e64 v13, s[14:15], v23, v13, s[14:15]
	global_load_dword v12, v[12:13], off
	v_mul_lo_u32 v13, s62, v11
	v_mul_lo_u32 v11, v11, s52
	v_lshlrev_b32_e32 v11, 2, v11
	v_add3_u32 v13, v10, v13, 1
	s_waitcnt vmcnt(0)
	v_lshlrev_b32_e32 v12, 2, v12
	v_add3_u32 v11, s54, v12, v11
	ds_write_b32 v11, v13
	s_branch .LBB29_76
.LBB29_79:                              ;   in Loop: Header=BB29_64 Depth=1
	s_or_b64 exec, exec, s[16:17]
	s_waitcnt lgkmcnt(0)
	s_barrier
	s_and_saveexec_b64 s[34:35], s[2:3]
	s_cbranch_execz .LBB29_63
; %bb.80:                               ;   in Loop: Header=BB29_64 Depth=1
	s_mov_b64 s[36:37], 0
	v_mov_b32_e32 v8, v21
	v_mov_b32_e32 v9, v14
	s_branch .LBB29_83
.LBB29_81:                              ;   in Loop: Header=BB29_83 Depth=2
	s_or_b64 exec, exec, s[42:43]
.LBB29_82:                              ;   in Loop: Header=BB29_83 Depth=2
	s_or_b64 exec, exec, s[38:39]
	v_add_u32_e32 v9, 32, v9
	v_cmp_le_i32_e64 s[14:15], s41, v9
	s_or_b64 s[36:37], s[14:15], s[36:37]
	v_add_u32_e32 v8, 0x80, v8
	s_waitcnt lgkmcnt(0)
	ds_write_b32 v10, v11
	s_andn2_b64 exec, exec, s[36:37]
	s_cbranch_execz .LBB29_63
.LBB29_83:                              ;   Parent Loop BB29_64 Depth=1
                                        ; =>  This Loop Header: Depth=2
                                        ;       Child Loop BB29_86 Depth 3
	v_lshl_add_u32 v10, v9, 2, 0
	ds_read_b32 v11, v10
	s_and_saveexec_b64 s[38:39], s[6:7]
	s_cbranch_execz .LBB29_82
; %bb.84:                               ;   in Loop: Header=BB29_83 Depth=2
	s_mov_b64 s[42:43], 0
	v_mov_b32_e32 v12, v8
	v_mov_b32_e32 v13, v20
	;; [unrolled: 1-line block ×3, first 2 shown]
	s_branch .LBB29_86
.LBB29_85:                              ;   in Loop: Header=BB29_86 Depth=3
	s_or_b64 exec, exec, s[16:17]
	ds_bpermute_b32 v24, v17, v24
	v_add_u32_e32 v23, 8, v23
	v_cmp_le_i32_e64 s[14:15], s33, v23
	v_add_u32_e32 v13, s49, v13
	s_or_b64 s[42:43], s[14:15], s[42:43]
	s_waitcnt lgkmcnt(0)
	v_add_u32_e32 v11, v24, v11
	v_add_u32_e32 v12, s63, v12
	s_andn2_b64 exec, exec, s[42:43]
	s_cbranch_execz .LBB29_81
.LBB29_86:                              ;   Parent Loop BB29_64 Depth=1
                                        ;     Parent Loop BB29_83 Depth=2
                                        ; =>    This Inner Loop Header: Depth=3
	ds_read_b32 v25, v12
	s_waitcnt lgkmcnt(0)
	v_cmp_ne_u32_e64 s[14:15], 0, v25
	v_cndmask_b32_e64 v24, 0, 1, s[14:15]
	s_nop 1
	v_mov_b32_dpp v24, v24 row_shr:1 row_mask:0xf bank_mask:0xf bound_ctrl:1
	v_addc_co_u32_e64 v26, s[16:17], 0, v24, s[14:15]
	s_nop 1
	v_mov_b32_dpp v26, v26 row_shr:2 row_mask:0xf bank_mask:0xf bound_ctrl:1
	v_addc_co_u32_e64 v24, s[16:17], v26, v24, s[14:15]
	s_nop 1
	v_add_u32_dpp v24, v24, v24 row_shr:4 row_mask:0xf bank_mask:0xf bound_ctrl:1
	s_nop 1
	v_add_u32_dpp v24, v24, v24 row_shr:8 row_mask:0xf bank_mask:0xf bound_ctrl:1
	s_nop 1
	v_mov_b32_dpp v26, v24 row_newbcast:7 row_mask:0xf bank_mask:0xf bound_ctrl:1
	v_cndmask_b32_e64 v26, v26, 0, s[8:9]
	v_sub_u32_e32 v24, v24, v26
	s_and_saveexec_b64 s[16:17], s[14:15]
	s_cbranch_execz .LBB29_85
; %bb.87:                               ;   in Loop: Header=BB29_86 Depth=3
	v_add_u32_e32 v26, v13, v25
	v_ashrrev_i32_e32 v27, 31, v26
	v_lshlrev_b64 v[26:27], 2, v[26:27]
	v_mov_b32_e32 v28, s58
	v_add_co_u32_e64 v26, s[14:15], s57, v26
	v_addc_co_u32_e64 v27, s[14:15], v28, v27, s[14:15]
	global_load_dword v30, v[26:27], off
	v_add_u32_e32 v26, s65, v23
	v_perm_b32 v25, v25, v26, s64
	v_add_u32_e32 v26, v24, v11
	v_ashrrev_i32_e32 v27, 31, v26
	v_lshlrev_b64 v[26:27], 2, v[26:27]
	v_mov_b32_e32 v29, s56
	v_add_co_u32_e64 v28, s[14:15], s51, v26
	v_add_u32_e32 v25, 0xff000000, v25
	v_addc_co_u32_e64 v29, s[14:15], v29, v27, s[14:15]
	global_store_dword v[28:29], v25, off
	v_mov_b32_e32 v25, s60
	v_add_co_u32_e64 v26, s[14:15], s59, v26
	v_addc_co_u32_e64 v27, s[14:15], v25, v27, s[14:15]
	s_waitcnt vmcnt(1)
	global_store_dword v[26:27], v30, off
	s_branch .LBB29_85
.LBB29_88:
	s_and_saveexec_b64 s[0:1], s[4:5]
	s_cbranch_execz .LBB29_99
; %bb.89:
	s_and_b32 s0, s40, 0xffffff
	s_lshl_b32 s1, s48, 24
	s_or_b32 s4, s1, s0
	s_mov_b32 s5, s4
	s_add_i32 s44, s44, 4
	s_mov_b64 s[2:3], 0
	s_mov_b32 s8, 0
	v_mov_b32_e32 v1, 0
	s_branch .LBB29_91
.LBB29_90:                              ;   in Loop: Header=BB29_91 Depth=1
	s_or_b64 exec, exec, s[12:13]
	v_add_u32_e32 v0, 0x100, v0
	v_cmp_le_i32_e32 vcc, s41, v0
	s_or_b64 s[2:3], vcc, s[2:3]
	s_andn2_b64 exec, exec, s[2:3]
	s_cbranch_execz .LBB29_99
.LBB29_91:                              ; =>This Loop Header: Depth=1
                                        ;     Child Loop BB29_94 Depth 2
                                        ;     Child Loop BB29_98 Depth 2
	v_lshlrev_b32_e32 v2, 2, v0
	v_add_u32_e32 v3, 0, v2
	v_add_u32_e32 v4, s44, v2
	ds_read_b32 v2, v3
	ds_read_b32 v8, v4
	s_waitcnt lgkmcnt(0)
	v_cmp_gt_i32_e32 vcc, v8, v2
	s_and_saveexec_b64 s[12:13], vcc
	s_cbranch_execz .LBB29_90
; %bb.92:                               ;   in Loop: Header=BB29_91 Depth=1
	v_sub_u32_e32 v3, v8, v2
	v_cmp_lt_u32_e32 vcc, 15, v3
	s_mov_b64 s[6:7], -1
	s_and_saveexec_b64 s[0:1], vcc
	s_cbranch_execz .LBB29_96
; %bb.93:                               ;   in Loop: Header=BB29_91 Depth=1
	v_and_b32_e32 v6, -16, v3
	s_mov_b64 s[14:15], 0
	v_mov_b32_e32 v4, v2
	v_mov_b32_e32 v7, v6
.LBB29_94:                              ;   Parent Loop BB29_91 Depth=1
                                        ; =>  This Inner Loop Header: Depth=2
	v_ashrrev_i32_e32 v5, 31, v4
	v_lshlrev_b64 v[14:15], 2, v[4:5]
	v_mov_b32_e32 v5, s21
	v_add_co_u32_e32 v16, vcc, s20, v14
	v_addc_co_u32_e32 v17, vcc, v5, v15, vcc
	s_mov_b32 s6, s4
	s_mov_b32 s7, s5
	v_pk_mov_b32 v[12:13], s[6:7], s[6:7] op_sel:[0,1]
	v_mov_b32_e32 v5, s23
	v_add_co_u32_e32 v14, vcc, s22, v14
	v_pk_mov_b32 v[10:11], s[4:5], s[4:5] op_sel:[0,1]
	v_addc_co_u32_e32 v15, vcc, v5, v15, vcc
	s_mov_b32 s10, s8
	s_mov_b32 s11, s8
	v_add_u32_e32 v7, -16, v7
	global_store_dwordx4 v[16:17], v[10:13], off
	global_store_dwordx4 v[16:17], v[10:13], off offset:16
	global_store_dwordx4 v[16:17], v[10:13], off offset:32
	;; [unrolled: 1-line block ×3, first 2 shown]
	s_mov_b32 s9, s8
	v_pk_mov_b32 v[12:13], s[10:11], s[10:11] op_sel:[0,1]
	v_cmp_eq_u32_e32 vcc, 0, v7
	v_pk_mov_b32 v[10:11], s[8:9], s[8:9] op_sel:[0,1]
	s_or_b64 s[14:15], vcc, s[14:15]
	v_add_u32_e32 v4, 16, v4
	global_store_dwordx4 v[14:15], v[10:13], off
	global_store_dwordx4 v[14:15], v[10:13], off offset:16
	global_store_dwordx4 v[14:15], v[10:13], off offset:32
	;; [unrolled: 1-line block ×3, first 2 shown]
	s_andn2_b64 exec, exec, s[14:15]
	s_cbranch_execnz .LBB29_94
; %bb.95:                               ;   in Loop: Header=BB29_91 Depth=1
	s_or_b64 exec, exec, s[14:15]
	v_cmp_ne_u32_e32 vcc, v3, v6
	v_add_u32_e32 v2, v2, v6
	s_orn2_b64 s[6:7], vcc, exec
.LBB29_96:                              ;   in Loop: Header=BB29_91 Depth=1
	s_or_b64 exec, exec, s[0:1]
	s_and_b64 exec, exec, s[6:7]
	s_cbranch_execz .LBB29_90
; %bb.97:                               ;   in Loop: Header=BB29_91 Depth=1
	v_ashrrev_i32_e32 v3, 31, v2
	v_lshlrev_b64 v[6:7], 2, v[2:3]
	v_mov_b32_e32 v3, s21
	v_add_co_u32_e32 v4, vcc, s20, v6
	v_addc_co_u32_e32 v5, vcc, v3, v7, vcc
	v_mov_b32_e32 v3, s23
	v_add_co_u32_e32 v6, vcc, s22, v6
	v_addc_co_u32_e32 v7, vcc, v3, v7, vcc
	s_mov_b64 s[6:7], 0
.LBB29_98:                              ;   Parent Loop BB29_91 Depth=1
                                        ; =>  This Inner Loop Header: Depth=2
	global_store_dword v[6:7], v1, off
	v_add_co_u32_e32 v6, vcc, 4, v6
	v_mov_b32_e32 v3, s4
	v_add_u32_e32 v2, 1, v2
	v_addc_co_u32_e32 v7, vcc, 0, v7, vcc
	global_store_dword v[4:5], v3, off
	v_cmp_ge_i32_e32 vcc, v2, v8
	v_add_co_u32_e64 v4, s[0:1], 4, v4
	s_or_b64 s[6:7], vcc, s[6:7]
	v_addc_co_u32_e64 v5, vcc, 0, v5, s[0:1]
	s_andn2_b64 exec, exec, s[6:7]
	s_cbranch_execnz .LBB29_98
	s_branch .LBB29_90
.LBB29_99:
	s_endpgm
	.section	.rodata,"a",@progbits
	.p2align	6, 0x0
	.amdhsa_kernel _ZN5aiter22opus_moe_sorting_entryINS_16MoeSortingKernelINS_19MoeSortingProblemExIifLi8ELb0ELb0ELb0ELb1ELi0EEEEENS4_5KargsEEEvT0_
		.amdhsa_group_segment_fixed_size 0
		.amdhsa_private_segment_fixed_size 0
		.amdhsa_kernarg_size 400
		.amdhsa_user_sgpr_count 6
		.amdhsa_user_sgpr_private_segment_buffer 1
		.amdhsa_user_sgpr_dispatch_ptr 0
		.amdhsa_user_sgpr_queue_ptr 0
		.amdhsa_user_sgpr_kernarg_segment_ptr 1
		.amdhsa_user_sgpr_dispatch_id 0
		.amdhsa_user_sgpr_flat_scratch_init 0
		.amdhsa_user_sgpr_kernarg_preload_length 0
		.amdhsa_user_sgpr_kernarg_preload_offset 0
		.amdhsa_user_sgpr_private_segment_size 0
		.amdhsa_uses_dynamic_stack 0
		.amdhsa_system_sgpr_private_segment_wavefront_offset 0
		.amdhsa_system_sgpr_workgroup_id_x 1
		.amdhsa_system_sgpr_workgroup_id_y 0
		.amdhsa_system_sgpr_workgroup_id_z 0
		.amdhsa_system_sgpr_workgroup_info 0
		.amdhsa_system_vgpr_workitem_id 0
		.amdhsa_next_free_vgpr 31
		.amdhsa_next_free_sgpr 66
		.amdhsa_accum_offset 32
		.amdhsa_reserve_vcc 1
		.amdhsa_reserve_flat_scratch 0
		.amdhsa_float_round_mode_32 0
		.amdhsa_float_round_mode_16_64 0
		.amdhsa_float_denorm_mode_32 3
		.amdhsa_float_denorm_mode_16_64 3
		.amdhsa_dx10_clamp 1
		.amdhsa_ieee_mode 1
		.amdhsa_fp16_overflow 0
		.amdhsa_tg_split 0
		.amdhsa_exception_fp_ieee_invalid_op 0
		.amdhsa_exception_fp_denorm_src 0
		.amdhsa_exception_fp_ieee_div_zero 0
		.amdhsa_exception_fp_ieee_overflow 0
		.amdhsa_exception_fp_ieee_underflow 0
		.amdhsa_exception_fp_ieee_inexact 0
		.amdhsa_exception_int_div_zero 0
	.end_amdhsa_kernel
	.section	.text._ZN5aiter22opus_moe_sorting_entryINS_16MoeSortingKernelINS_19MoeSortingProblemExIifLi8ELb0ELb0ELb0ELb1ELi0EEEEENS4_5KargsEEEvT0_,"axG",@progbits,_ZN5aiter22opus_moe_sorting_entryINS_16MoeSortingKernelINS_19MoeSortingProblemExIifLi8ELb0ELb0ELb0ELb1ELi0EEEEENS4_5KargsEEEvT0_,comdat
.Lfunc_end29:
	.size	_ZN5aiter22opus_moe_sorting_entryINS_16MoeSortingKernelINS_19MoeSortingProblemExIifLi8ELb0ELb0ELb0ELb1ELi0EEEEENS4_5KargsEEEvT0_, .Lfunc_end29-_ZN5aiter22opus_moe_sorting_entryINS_16MoeSortingKernelINS_19MoeSortingProblemExIifLi8ELb0ELb0ELb0ELb1ELi0EEEEENS4_5KargsEEEvT0_
                                        ; -- End function
	.section	.AMDGPU.csdata,"",@progbits
; Kernel info:
; codeLenInByte = 4668
; NumSgprs: 70
; NumVgprs: 31
; NumAgprs: 0
; TotalNumVgprs: 31
; ScratchSize: 0
; MemoryBound: 0
; FloatMode: 240
; IeeeMode: 1
; LDSByteSize: 0 bytes/workgroup (compile time only)
; SGPRBlocks: 8
; VGPRBlocks: 3
; NumSGPRsForWavesPerEU: 70
; NumVGPRsForWavesPerEU: 31
; AccumOffset: 32
; Occupancy: 8
; WaveLimiterHint : 1
; COMPUTE_PGM_RSRC2:SCRATCH_EN: 0
; COMPUTE_PGM_RSRC2:USER_SGPR: 6
; COMPUTE_PGM_RSRC2:TRAP_HANDLER: 0
; COMPUTE_PGM_RSRC2:TGID_X_EN: 1
; COMPUTE_PGM_RSRC2:TGID_Y_EN: 0
; COMPUTE_PGM_RSRC2:TGID_Z_EN: 0
; COMPUTE_PGM_RSRC2:TIDIG_COMP_CNT: 0
; COMPUTE_PGM_RSRC3_GFX90A:ACCUM_OFFSET: 7
; COMPUTE_PGM_RSRC3_GFX90A:TG_SPLIT: 0
	.section	.text._ZN5aiter22opus_moe_sorting_entryINS_16MoeSortingKernelINS_19MoeSortingProblemExIifLi4ELb0ELb0ELb0ELb1ELi0EEEEENS4_5KargsEEEvT0_,"axG",@progbits,_ZN5aiter22opus_moe_sorting_entryINS_16MoeSortingKernelINS_19MoeSortingProblemExIifLi4ELb0ELb0ELb0ELb1ELi0EEEEENS4_5KargsEEEvT0_,comdat
	.protected	_ZN5aiter22opus_moe_sorting_entryINS_16MoeSortingKernelINS_19MoeSortingProblemExIifLi4ELb0ELb0ELb0ELb1ELi0EEEEENS4_5KargsEEEvT0_ ; -- Begin function _ZN5aiter22opus_moe_sorting_entryINS_16MoeSortingKernelINS_19MoeSortingProblemExIifLi4ELb0ELb0ELb0ELb1ELi0EEEEENS4_5KargsEEEvT0_
	.globl	_ZN5aiter22opus_moe_sorting_entryINS_16MoeSortingKernelINS_19MoeSortingProblemExIifLi4ELb0ELb0ELb0ELb1ELi0EEEEENS4_5KargsEEEvT0_
	.p2align	8
	.type	_ZN5aiter22opus_moe_sorting_entryINS_16MoeSortingKernelINS_19MoeSortingProblemExIifLi4ELb0ELb0ELb0ELb1ELi0EEEEENS4_5KargsEEEvT0_,@function
_ZN5aiter22opus_moe_sorting_entryINS_16MoeSortingKernelINS_19MoeSortingProblemExIifLi4ELb0ELb0ELb0ELb1ELi0EEEEENS4_5KargsEEEvT0_: ; @_ZN5aiter22opus_moe_sorting_entryINS_16MoeSortingKernelINS_19MoeSortingProblemExIifLi4ELb0ELb0ELb0ELb1ELi0EEEEENS4_5KargsEEEvT0_
; %bb.0:
	s_load_dwordx8 s[20:27], s[4:5], 0x20
	s_load_dwordx8 s[36:43], s[4:5], 0x40
	s_cmp_eq_u32 s6, 0
	s_cbranch_scc1 .LBB30_7
; %bb.1:
	s_waitcnt lgkmcnt(0)
	s_cmp_eq_u64 s[36:37], 0
	s_mov_b64 s[2:3], 0
	s_cbranch_scc1 .LBB30_6
; %bb.2:
	s_mul_i32 s1, s42, s40
	s_ashr_i32 s7, s43, 31
	s_mul_hi_i32 s0, s42, s40
	s_mul_i32 s7, s1, s7
	s_mul_hi_u32 s8, s1, s43
	s_add_i32 s7, s8, s7
	s_mul_i32 s0, s0, s43
	s_add_i32 s8, s7, s0
	s_ashr_i32 s0, s8, 31
	s_mul_i32 s1, s1, s43
	s_lshr_b32 s0, s0, 28
	s_add_u32 s0, s1, s0
	s_addc_u32 s1, s8, 0
	v_lshl_add_u32 v1, s6, 8, v0
	s_ashr_i64 s[8:9], s[0:1], 4
	v_add_u32_e32 v2, 0xffffff00, v1
	v_mov_b32_e32 v3, 0
	s_mov_b32 s7, 0
	v_cmp_gt_i64_e32 vcc, s[8:9], v[2:3]
	s_and_saveexec_b64 s[10:11], vcc
	s_cbranch_execz .LBB30_5
; %bb.3:
	s_load_dword s0, s[4:5], 0x90
	v_lshlrev_b64 v[4:5], 4, v[2:3]
	v_mov_b32_e32 v1, s37
	v_add_co_u32_e32 v8, vcc, s36, v4
	s_waitcnt lgkmcnt(0)
	s_lshl_b32 s0, s0, 8
	s_add_i32 s6, s0, 0xffffff00
	s_lshl_b64 s[12:13], s[6:7], 4
	v_pk_mov_b32 v[6:7], v[2:3], v[2:3] op_sel:[0,1]
	v_addc_co_u32_e32 v9, vcc, v1, v5, vcc
	s_mov_b64 s[14:15], 0
	v_mov_b32_e32 v2, v3
	v_mov_b32_e32 v4, v3
	;; [unrolled: 1-line block ×5, first 2 shown]
.LBB30_4:                               ; =>This Inner Loop Header: Depth=1
	v_add_co_u32_e32 v6, vcc, s6, v6
	v_addc_co_u32_e32 v7, vcc, v7, v1, vcc
	global_store_dwordx4 v[8:9], v[2:5], off
	v_add_co_u32_e32 v8, vcc, s12, v8
	v_cmp_le_i64_e64 s[0:1], s[8:9], v[6:7]
	s_or_b64 s[14:15], s[0:1], s[14:15]
	v_addc_co_u32_e32 v9, vcc, v9, v10, vcc
	s_andn2_b64 exec, exec, s[14:15]
	s_cbranch_execnz .LBB30_4
.LBB30_5:
	s_or_b64 exec, exec, s[10:11]
.LBB30_6:
	s_andn2_b64 vcc, exec, s[2:3]
	s_cbranch_vccz .LBB30_8
	s_branch .LBB30_99
.LBB30_7:
.LBB30_8:
	s_load_dwordx8 s[44:51], s[4:5], 0x64
	s_load_dwordx4 s[28:31], s[4:5], 0x0
	s_load_dwordx2 s[18:19], s[4:5], 0x84
	v_lshrrev_b32_e32 v1, 6, v0
	v_readfirstlane_b32 s16, v1
	s_waitcnt lgkmcnt(0)
	s_add_i32 s33, s44, -2
	s_mul_i32 s53, s33, s41
	s_add_i32 s52, s41, 1
	v_cmp_gt_i32_e64 s[0:1], s53, v0
	v_xad_u32 v8, v0, -1, s53
	s_and_saveexec_b64 s[2:3], s[0:1]
	s_cbranch_execz .LBB30_18
; %bb.9:
	s_movk_i32 s6, 0xff
	s_mov_b32 s5, 0
	s_mov_b32 s4, s18
	s_sub_i32 s10, s52, s51
	v_cmp_lt_u32_e32 vcc, s6, v8
	s_mov_b64 s[8:9], 0
                                        ; implicit-def: $vgpr1
                                        ; implicit-def: $sgpr11
	s_and_saveexec_b64 s[6:7], vcc
	s_xor_b64 s[6:7], exec, s[6:7]
	s_cbranch_execnz .LBB30_12
; %bb.10:
	s_or_saveexec_b64 s[6:7], s[6:7]
	v_mov_b32_e32 v2, s11
	s_xor_b64 exec, exec, s[6:7]
	s_cbranch_execnz .LBB30_15
.LBB30_11:
	s_or_b64 exec, exec, s[6:7]
	s_and_b64 exec, exec, s[8:9]
	s_cbranch_execnz .LBB30_16
	s_branch .LBB30_18
.LBB30_12:
	v_lshrrev_b32_e32 v1, 8, v8
	v_add_u32_e32 v4, 1, v1
	s_lshl_b32 s11, s41, 3
	v_and_b32_e32 v5, 0x1fffffe, v4
	v_add_u32_e32 v1, 0x100, v0
	s_add_i32 s8, s11, 0
	s_mov_b32 s12, s4
	s_mov_b32 s13, s19
	s_mov_b32 s14, s19
	s_mov_b32 s15, s10
	v_lshl_add_u32 v6, v0, 2, s8
	s_mov_b64 s[8:9], 0
	v_mov_b32_e32 v7, 0
	v_mov_b32_e32 v9, v5
	v_pk_mov_b32 v[2:3], v[0:1], v[0:1] op_sel:[0,1]
.LBB30_13:                              ; =>This Inner Loop Header: Depth=1
	v_mul_hi_u32 v1, s4, v2
	v_mul_hi_u32 v10, s12, v3
	v_add_u32_e32 v10, v3, v10
	v_add_u32_e32 v1, v2, v1
	v_add_u32_e32 v9, -2, v9
	v_lshrrev_b32_e32 v1, s13, v1
	v_lshrrev_b32_e32 v10, s14, v10
	v_cmp_eq_u32_e32 vcc, 0, v9
	v_mul_lo_u32 v10, v10, s15
	v_mul_lo_u32 v1, v1, s10
	v_add_u32_e32 v3, 0x200, v3
	v_add_u32_e32 v2, 0x200, v2
	s_or_b64 s[8:9], vcc, s[8:9]
	v_lshl_add_u32 v1, v1, 2, v6
	v_lshl_add_u32 v10, v10, 2, v6
	v_add_u32_e32 v6, 0x800, v6
	ds_write_b32 v1, v7 offset:8
	ds_write_b32 v10, v7 offset:1032
	s_andn2_b64 exec, exec, s[8:9]
	s_cbranch_execnz .LBB30_13
; %bb.14:
	s_or_b64 exec, exec, s[8:9]
	v_cmp_ne_u32_e32 vcc, v4, v5
	v_lshl_add_u32 v1, v5, 8, v0
	s_and_b64 s[8:9], vcc, exec
	s_or_saveexec_b64 s[6:7], s[6:7]
	v_mov_b32_e32 v2, s11
	s_xor_b64 exec, exec, s[6:7]
	s_cbranch_execz .LBB30_11
.LBB30_15:
	s_lshl_b32 s11, s41, 3
	v_mov_b32_e32 v2, s11
	s_or_b64 s[8:9], s[8:9], exec
	v_mov_b32_e32 v1, v0
	s_or_b64 exec, exec, s[6:7]
	s_and_b64 exec, exec, s[8:9]
	s_cbranch_execz .LBB30_18
.LBB30_16:
	v_lshl_add_u32 v2, v1, 2, v2
	v_mad_u64_u32 v[4:5], s[6:7], v1, s4, 0
	s_lshl_b64 s[4:5], s[4:5], 8
	s_lshl_b32 s8, s10, 2
	v_add3_u32 v2, v2, 0, 8
	s_mov_b64 s[6:7], 0
	v_mov_b32_e32 v3, 0
	v_mov_b32_e32 v6, s5
.LBB30_17:                              ; =>This Inner Loop Header: Depth=1
	v_add_co_u32_e32 v4, vcc, s4, v4
	v_add_u32_e32 v7, v1, v5
	v_add_u32_e32 v1, 0x100, v1
	v_addc_co_u32_e32 v5, vcc, v5, v6, vcc
	v_lshrrev_b32_e32 v7, s19, v7
	v_cmp_le_i32_e32 vcc, s53, v1
	v_mad_u64_u32 v[10:11], s[10:11], s8, v7, v[2:3]
	v_add_u32_e32 v2, 0x400, v2
	s_or_b64 s[6:7], vcc, s[6:7]
	ds_write_b32 v10, v3
	s_andn2_b64 exec, exec, s[6:7]
	s_cbranch_execnz .LBB30_17
.LBB30_18:
	s_or_b64 exec, exec, s[2:3]
	s_lshl_b32 s2, s52, 3
	s_add_i32 s54, s2, 0
	s_cmp_gt_i32 s40, 0
	s_mul_i32 s55, s48, s33
	s_mov_b32 s5, 0
	s_cselect_b64 s[10:11], -1, 0
	s_cmp_lt_i32 s40, 1
	v_cmp_gt_i32_e32 vcc, s55, v0
	s_waitcnt lgkmcnt(0)
	s_barrier
	s_cbranch_scc1 .LBB30_26
; %bb.19:
	s_mov_b32 s4, s49
	v_mad_u64_u32 v[2:3], s[2:3], v0, s49, 0
	s_lshl_b64 s[6:7], s[4:5], 8
	v_mov_b32_e32 v5, 0
	s_mov_b32 s4, 0
	s_branch .LBB30_21
.LBB30_20:                              ;   in Loop: Header=BB30_21 Depth=1
	s_or_b64 exec, exec, s[8:9]
	s_add_i32 s4, s4, s33
	s_add_i32 s5, s5, s55
	s_cmp_ge_i32 s4, s40
	s_barrier
	s_cbranch_scc1 .LBB30_26
.LBB30_21:                              ; =>This Loop Header: Depth=1
                                        ;     Child Loop BB30_24 Depth 2
	s_and_saveexec_b64 s[8:9], vcc
	s_cbranch_execz .LBB30_20
; %bb.22:                               ;   in Loop: Header=BB30_21 Depth=1
	s_mov_b64 s[12:13], 0
	v_pk_mov_b32 v[6:7], v[2:3], v[2:3] op_sel:[0,1]
	v_mov_b32_e32 v1, v0
	s_branch .LBB30_24
.LBB30_23:                              ;   in Loop: Header=BB30_24 Depth=2
	s_or_b64 exec, exec, s[14:15]
	v_add_u32_e32 v1, 0x100, v1
	v_cmp_le_i32_e64 s[2:3], s55, v1
	v_mov_b32_e32 v4, s7
	s_or_b64 s[12:13], s[2:3], s[12:13]
	v_add_co_u32_e64 v6, s[2:3], s6, v6
	v_addc_co_u32_e64 v7, s[2:3], v7, v4, s[2:3]
	s_waitcnt lgkmcnt(0)
	s_andn2_b64 exec, exec, s[12:13]
	s_cbranch_execz .LBB30_20
.LBB30_24:                              ;   Parent Loop BB30_21 Depth=1
                                        ; =>  This Inner Loop Header: Depth=2
	v_add_u32_e32 v4, v1, v7
	v_lshrrev_b32_e32 v9, s50, v4
	v_add_u32_e32 v4, s4, v9
	v_cmp_gt_i32_e64 s[2:3], s40, v4
	s_and_saveexec_b64 s[14:15], s[2:3]
	s_cbranch_execz .LBB30_23
; %bb.25:                               ;   in Loop: Header=BB30_24 Depth=2
	v_add_u32_e32 v4, s5, v1
	v_lshlrev_b64 v[10:11], 2, v[4:5]
	v_mov_b32_e32 v4, s29
	v_add_co_u32_e64 v10, s[2:3], s28, v10
	v_addc_co_u32_e64 v11, s[2:3], v4, v11, s[2:3]
	global_load_dword v4, v[10:11], off
	v_mul_lo_u32 v9, v9, s52
	v_lshlrev_b32_e32 v9, 2, v9
	s_waitcnt vmcnt(0)
	v_lshlrev_b32_e32 v4, 2, v4
	v_add3_u32 v4, s54, v4, v9
	ds_read_b32 v9, v4
	s_waitcnt lgkmcnt(0)
	v_add_u32_e32 v9, 1, v9
	ds_write_b32 v4, v9
	s_branch .LBB30_23
.LBB30_26:
	v_cmp_eq_u32_e32 vcc, 0, v0
	s_and_saveexec_b64 s[2:3], vcc
	s_cbranch_execz .LBB30_28
; %bb.27:
	v_mov_b32_e32 v1, 0
	ds_write_b32 v1, v1
.LBB30_28:
	s_or_b64 exec, exec, s[2:3]
	v_mbcnt_lo_u32_b32 v1, -1, 0
	v_and_b32_e32 v15, 7, v0
	v_mbcnt_hi_u32_b32 v11, -1, v1
	v_lshrrev_b32_e32 v14, 3, v0
	v_mul_lo_u32 v1, s52, v15
	v_cmp_gt_i32_e64 s[2:3], s41, v14
	v_lshlrev_b32_e32 v9, 2, v14
	v_lshlrev_b32_e32 v10, 2, v1
	s_and_saveexec_b64 s[8:9], s[2:3]
	s_cbranch_execz .LBB30_36
; %bb.29:
	s_cmp_gt_i32 s44, 2
	s_mul_i32 s12, s41, 0x68
	s_cselect_b64 s[6:7], -1, 0
	s_add_i32 s12, s12, 0
	v_add_u32_e32 v4, s12, v10
	s_mul_i32 s12, s41, 0x48
	s_add_i32 s12, s12, 0
	v_add_u32_e32 v5, s12, v10
	s_mul_i32 s12, s41, 40
	s_add_i32 s12, s12, 0
	v_add3_u32 v6, s12, v10, 40
	s_lshl_b32 s12, s41, 3
	v_lshlrev_b32_e32 v3, 2, v11
	s_lshl_b32 s17, s41, 7
	s_add_i32 s12, s12, 0
	v_cndmask_b32_e64 v12, 0, 1, s[6:7]
	v_xor_b32_e32 v1, 4, v3
	v_xor_b32_e32 v2, 8, v3
	;; [unrolled: 1-line block ×3, first 2 shown]
	v_cmp_eq_u32_e64 s[4:5], 0, v15
	v_add_u32_e32 v4, 0x68, v4
	s_addk_i32 s17, 0x80
	v_add_u32_e32 v5, 0x48, v5
	v_add3_u32 v7, s12, v10, 8
	s_mov_b64 s[12:13], 0
	v_cmp_ne_u32_e64 s[6:7], 1, v12
	v_mov_b32_e32 v12, v14
	s_branch .LBB30_31
.LBB30_30:                              ;   in Loop: Header=BB30_31 Depth=1
	s_or_b64 exec, exec, s[14:15]
	v_add_u32_e32 v12, 32, v12
	v_cmp_le_i32_e32 vcc, s41, v12
	v_add_u32_e32 v4, 0x80, v4
	v_add_u32_e32 v5, 0x80, v5
	;; [unrolled: 1-line block ×3, first 2 shown]
	s_or_b64 s[12:13], vcc, s[12:13]
	v_add_u32_e32 v7, 0x80, v7
	s_andn2_b64 exec, exec, s[12:13]
	s_cbranch_execz .LBB30_36
.LBB30_31:                              ; =>This Loop Header: Depth=1
                                        ;     Child Loop BB30_33 Depth 2
	s_and_b64 vcc, exec, s[6:7]
	v_mov_b32_e32 v13, 0
	s_cbranch_vccnz .LBB30_34
; %bb.32:                               ;   in Loop: Header=BB30_31 Depth=1
	s_mov_b32 s14, 0
	v_mov_b32_e32 v13, 0
	v_mov_b32_e32 v16, v7
	;; [unrolled: 1-line block ×5, first 2 shown]
.LBB30_33:                              ;   Parent Loop BB30_31 Depth=1
                                        ; =>  This Inner Loop Header: Depth=2
	v_add_u32_e32 v20, v16, v9
	v_add_u32_e32 v21, v17, v9
	;; [unrolled: 1-line block ×4, first 2 shown]
	ds_read_b32 v20, v20
	ds_read_b32 v21, v21
	;; [unrolled: 1-line block ×4, first 2 shown]
	s_add_i32 s14, s14, 32
	s_waitcnt lgkmcnt(3)
	ds_bpermute_b32 v24, v1, v20
	s_waitcnt lgkmcnt(3)
	ds_bpermute_b32 v25, v1, v21
	;; [unrolled: 2-line block ×4, first 2 shown]
	v_add_u32_e32 v19, s17, v19
	s_waitcnt lgkmcnt(3)
	v_add_u32_e32 v20, v24, v20
	s_waitcnt lgkmcnt(2)
	v_add_u32_e32 v21, v25, v21
	ds_bpermute_b32 v24, v2, v20
	s_waitcnt lgkmcnt(2)
	v_add_u32_e32 v22, v26, v22
	ds_bpermute_b32 v25, v2, v21
	;; [unrolled: 3-line block ×3, first 2 shown]
	ds_bpermute_b32 v27, v2, v23
	s_waitcnt lgkmcnt(3)
	v_add_u32_e32 v20, v24, v20
	s_waitcnt lgkmcnt(2)
	v_add_u32_e32 v21, v25, v21
	ds_bpermute_b32 v24, v3, v20
	s_waitcnt lgkmcnt(2)
	v_add_u32_e32 v22, v26, v22
	ds_bpermute_b32 v25, v3, v21
	;; [unrolled: 3-line block ×3, first 2 shown]
	ds_bpermute_b32 v27, v3, v23
	s_waitcnt lgkmcnt(3)
	v_add3_u32 v13, v20, v13, v24
	s_waitcnt lgkmcnt(2)
	v_add3_u32 v13, v13, v21, v25
	v_add_u32_e32 v18, s17, v18
	s_waitcnt lgkmcnt(1)
	v_add3_u32 v13, v13, v22, v26
	v_add_u32_e32 v17, s17, v17
	v_add_u32_e32 v16, s17, v16
	s_cmp_lt_i32 s14, s33
	s_waitcnt lgkmcnt(0)
	v_add3_u32 v13, v13, v23, v27
	s_cbranch_scc1 .LBB30_33
.LBB30_34:                              ;   in Loop: Header=BB30_31 Depth=1
	s_and_saveexec_b64 s[14:15], s[4:5]
	s_cbranch_execz .LBB30_30
; %bb.35:                               ;   in Loop: Header=BB30_31 Depth=1
	v_lshl_add_u32 v16, v12, 2, 0
	ds_write_b32 v16, v13 offset:4
	s_branch .LBB30_30
.LBB30_36:
	s_or_b64 exec, exec, s[8:9]
	s_cmp_lg_u32 s16, 0
	s_mov_b32 s14, 0
	s_waitcnt lgkmcnt(0)
	s_barrier
	s_cbranch_scc1 .LBB30_45
; %bb.37:
	s_cmp_lt_i32 s41, 1
	v_mov_b32_e32 v2, 0
	s_cbranch_scc1 .LBB30_42
; %bb.38:
	v_lshlrev_b32_e32 v2, 2, v11
	v_and_b32_e32 v3, 0xc0, v2
	v_cmp_eq_u32_e32 vcc, 0, v11
	s_add_i32 s15, s45, -1
	v_add_u32_e32 v1, -4, v3
	v_cmp_lt_u32_e64 s[4:5], 15, v11
	v_add_u32_e32 v3, 0xffffffbc, v3
	v_cmp_lt_u32_e64 s[6:7], 31, v11
	v_add3_u32 v4, v2, 0, 4
	s_branch .LBB30_40
.LBB30_39:                              ;   in Loop: Header=BB30_40 Depth=1
	s_or_b64 exec, exec, s[12:13]
	s_add_i32 s14, s14, 64
	s_cmp_lt_i32 s14, s41
	v_add_u32_e32 v4, 0x100, v4
	s_waitcnt lgkmcnt(0)
	s_cbranch_scc0 .LBB30_42
.LBB30_40:                              ; =>This Inner Loop Header: Depth=1
	ds_read_b32 v5, v4
	v_mov_b32_e32 v2, s14
	v_cndmask_b32_e32 v2, 0, v2, vcc
	v_lshl_add_u32 v2, v2, 2, 0
	ds_read_b32 v2, v2
	s_waitcnt lgkmcnt(1)
	v_add_u32_e32 v5, s15, v5
	v_mul_hi_u32 v6, v5, s46
	v_add_u32_e32 v5, v5, v6
	v_lshrrev_b32_e32 v5, s47, v5
	s_waitcnt lgkmcnt(0)
	v_mad_u64_u32 v[6:7], s[8:9], v5, s45, v[2:3]
	s_nop 1
	v_add_u32_dpp v2, v6, v6 row_shr:1 row_mask:0xf bank_mask:0xf bound_ctrl:1
	v_add_u32_e32 v6, s14, v11
	v_cmp_gt_i32_e64 s[8:9], s41, v6
	v_add_u32_dpp v2, v2, v2 row_shr:2 row_mask:0xf bank_mask:0xf bound_ctrl:1
	s_nop 1
	v_add_u32_dpp v2, v2, v2 row_shr:4 row_mask:0xf bank_mask:0xf bound_ctrl:1
	s_nop 1
	v_add_u32_dpp v2, v2, v2 row_shr:8 row_mask:0xf bank_mask:0xf bound_ctrl:1
	ds_bpermute_b32 v5, v1, v2
	s_waitcnt lgkmcnt(0)
	v_cndmask_b32_e64 v5, 0, v5, s[4:5]
	v_add_u32_e32 v2, v2, v5
	ds_bpermute_b32 v5, v3, v2
	s_waitcnt lgkmcnt(0)
	v_cndmask_b32_e64 v5, 0, v5, s[6:7]
	v_add_u32_e32 v2, v2, v5
	s_and_saveexec_b64 s[12:13], s[8:9]
	s_cbranch_execz .LBB30_39
; %bb.41:                               ;   in Loop: Header=BB30_40 Depth=1
	ds_write_b32 v4, v2
	s_branch .LBB30_39
.LBB30_42:
	v_add_u32_e32 v1, s14, v11
	v_subrev_u32_e32 v1, 63, v1
	v_cmp_eq_u32_e32 vcc, s41, v1
	s_and_saveexec_b64 s[4:5], vcc
	s_cbranch_execz .LBB30_44
; %bb.43:
	v_mov_b32_e32 v1, 0
	v_mov_b32_e32 v3, s40
	global_store_dwordx2 v1, v[2:3], s[26:27]
.LBB30_44:
	s_or_b64 exec, exec, s[4:5]
.LBB30_45:
	s_cmp_eq_u64 s[38:39], 0
	s_barrier
	s_cbranch_scc1 .LBB30_55
; %bb.46:
	s_mul_i32 s14, s48, s40
	v_cmp_gt_i32_e32 vcc, s14, v0
	s_and_saveexec_b64 s[6:7], vcc
	s_cbranch_execz .LBB30_54
; %bb.47:
	v_xad_u32 v1, v0, -1, s14
	s_movk_i32 s4, 0xff
	v_cmp_lt_u32_e32 vcc, s4, v1
	s_mov_b64 s[4:5], -1
	v_mov_b32_e32 v2, v0
	s_and_saveexec_b64 s[8:9], vcc
	s_cbranch_execz .LBB30_51
; %bb.48:
	v_lshrrev_b32_e32 v1, 8, v1
	v_add_u32_e32 v6, 1, v1
	v_and_b32_e32 v7, 0x1fffffe, v6
	v_add_u32_e32 v1, 0x100, v0
	s_mov_b64 s[12:13], 0
	v_mov_b32_e32 v12, s29
	v_mov_b32_e32 v13, s39
	;; [unrolled: 1-line block ×4, first 2 shown]
	v_pk_mov_b32 v[4:5], v[0:1], v[0:1] op_sel:[0,1]
.LBB30_49:                              ; =>This Inner Loop Header: Depth=1
	v_mov_b32_e32 v2, v4
	v_lshlrev_b64 v[18:19], 2, v[2:3]
	v_mov_b32_e32 v2, v5
	v_add_co_u32_e32 v20, vcc, s28, v18
	v_addc_co_u32_e32 v21, vcc, v12, v19, vcc
	v_lshlrev_b64 v[22:23], 2, v[2:3]
	v_add_co_u32_e32 v24, vcc, s28, v22
	v_addc_co_u32_e32 v25, vcc, v12, v23, vcc
	global_load_dword v1, v[20:21], off
	global_load_dword v2, v[24:25], off
	v_add_u32_e32 v16, -2, v16
	v_cmp_eq_u32_e32 vcc, 0, v16
	v_add_co_u32_e64 v18, s[4:5], s38, v18
	v_add_u32_e32 v4, 0x200, v4
	v_add_u32_e32 v5, 0x200, v5
	v_addc_co_u32_e64 v19, s[4:5], v13, v19, s[4:5]
	s_or_b64 s[12:13], vcc, s[12:13]
	v_add_co_u32_e32 v20, vcc, s38, v22
	v_addc_co_u32_e32 v21, vcc, v13, v23, vcc
	s_waitcnt vmcnt(1)
	global_store_dword v[18:19], v1, off
	s_waitcnt vmcnt(1)
	global_store_dword v[20:21], v2, off
	s_andn2_b64 exec, exec, s[12:13]
	s_cbranch_execnz .LBB30_49
; %bb.50:
	s_or_b64 exec, exec, s[12:13]
	v_cmp_ne_u32_e32 vcc, v6, v7
	v_lshl_add_u32 v2, v7, 8, v0
	s_orn2_b64 s[4:5], vcc, exec
.LBB30_51:
	s_or_b64 exec, exec, s[8:9]
	s_and_b64 exec, exec, s[4:5]
	s_cbranch_execz .LBB30_54
; %bb.52:
	v_mov_b32_e32 v3, 0
	v_lshlrev_b64 v[6:7], 2, v[2:3]
	v_mov_b32_e32 v1, s29
	v_add_co_u32_e32 v4, vcc, s28, v6
	v_addc_co_u32_e32 v5, vcc, v1, v7, vcc
	v_mov_b32_e32 v1, s39
	v_add_co_u32_e32 v6, vcc, s38, v6
	v_addc_co_u32_e32 v7, vcc, v1, v7, vcc
	s_mov_b64 s[4:5], 0
.LBB30_53:                              ; =>This Inner Loop Header: Depth=1
	global_load_dword v1, v[4:5], off
	v_add_co_u32_e32 v4, vcc, 0x400, v4
	v_add_u32_e32 v2, 0x100, v2
	v_addc_co_u32_e32 v5, vcc, 0, v5, vcc
	v_cmp_le_i32_e32 vcc, s14, v2
	s_or_b64 s[4:5], vcc, s[4:5]
	s_waitcnt vmcnt(0)
	global_store_dword v[6:7], v1, off
	v_add_co_u32_e32 v6, vcc, 0x400, v6
	v_addc_co_u32_e32 v7, vcc, 0, v7, vcc
	s_andn2_b64 exec, exec, s[4:5]
	s_cbranch_execnz .LBB30_53
.LBB30_54:
	s_or_b64 exec, exec, s[6:7]
	s_barrier
.LBB30_55:
	s_lshl_b32 s16, s41, 2
	s_add_i32 s17, s16, 0
	s_add_i32 s44, s17, 4
	v_cmp_gt_i32_e64 s[4:5], s41, v0
	s_and_saveexec_b64 s[6:7], s[4:5]
	s_cbranch_execz .LBB30_61
; %bb.56:
	s_mov_b64 s[8:9], 0
	v_mov_b32_e32 v3, 0
	v_mov_b32_e32 v1, v0
	s_branch .LBB30_58
.LBB30_57:                              ;   in Loop: Header=BB30_58 Depth=1
	s_or_b64 exec, exec, s[12:13]
	v_add_u32_e32 v1, 0x100, v1
	v_cmp_le_i32_e32 vcc, s41, v1
	s_or_b64 s[8:9], vcc, s[8:9]
	s_andn2_b64 exec, exec, s[8:9]
	s_cbranch_execz .LBB30_61
.LBB30_58:                              ; =>This Loop Header: Depth=1
                                        ;     Child Loop BB30_60 Depth 2
	v_lshlrev_b32_e32 v2, 2, v1
	v_add_u32_e32 v4, 0, v2
	ds_read2_b32 v[4:5], v4 offset1:1
	v_add_u32_e32 v2, s44, v2
	s_waitcnt lgkmcnt(0)
	v_cmp_lt_i32_e32 vcc, v4, v5
	ds_write_b32 v2, v4
	s_and_saveexec_b64 s[12:13], vcc
	s_cbranch_execz .LBB30_57
; %bb.59:                               ;   in Loop: Header=BB30_58 Depth=1
	s_mov_b64 s[14:15], 0
.LBB30_60:                              ;   Parent Loop BB30_58 Depth=1
                                        ; =>  This Inner Loop Header: Depth=2
	v_mul_hi_u32 v2, s46, v4
	v_add_u32_e32 v2, v4, v2
	v_add_u32_e32 v4, s45, v4
	v_lshrrev_b32_e32 v2, s47, v2
	v_cmp_ge_i32_e32 vcc, v4, v5
	v_lshlrev_b64 v[6:7], 2, v[2:3]
	v_mov_b32_e32 v12, s25
	s_or_b64 s[14:15], vcc, s[14:15]
	v_add_co_u32_e32 v6, vcc, s24, v6
	v_addc_co_u32_e32 v7, vcc, v12, v7, vcc
	global_store_dword v[6:7], v1, off
	s_andn2_b64 exec, exec, s[14:15]
	s_cbranch_execnz .LBB30_60
	s_branch .LBB30_57
.LBB30_61:
	s_or_b64 exec, exec, s[6:7]
	v_mov_b32_e32 v1, s17
	s_waitcnt lgkmcnt(0)
	s_barrier
	ds_read_b32 v1, v1
	s_add_i32 s6, s17, s16
	v_mov_b32_e32 v2, s6
	s_andn2_b64 vcc, exec, s[10:11]
	s_waitcnt lgkmcnt(0)
	ds_write_b32 v2, v1 offset:4
	s_cbranch_vccnz .LBB30_88
; %bb.62:
	s_mov_b32 s24, s18
	s_sub_i32 s18, s52, s51
	s_add_u32 s51, s20, -4
	s_addc_u32 s56, s21, -1
	v_and_b32_e32 v1, 8, v11
	s_add_u32 s57, s30, -4
	v_cmp_eq_u32_e64 s[8:9], 0, v1
	v_lshrrev_b32_e32 v1, 8, v8
	s_addc_u32 s58, s31, -1
	v_add_u32_e32 v3, 1, v1
	s_add_u32 s59, s22, -4
	s_mov_b32 s25, 0
	s_movk_i32 s10, 0xff
	v_and_b32_e32 v18, 0x1fffffe, v3
	s_addc_u32 s60, s23, -1
	s_lshl_b32 s34, s41, 3
	s_mov_b32 s14, s49
	s_mov_b32 s15, s25
	v_lshlrev_b32_e32 v16, 2, v0
	v_cmp_lt_u32_e64 s[10:11], s10, v8
	v_lshl_add_u32 v2, v18, 8, v0
	v_cmp_ne_u32_e64 s[12:13], v3, v18
	s_add_i32 s16, s34, 0
	v_mov_b32_e32 v3, 0
	v_add3_u32 v8, v10, s34, v9
	s_lshl_b32 s63, s41, 5
	v_cmp_gt_i32_e32 vcc, s55, v0
	v_cmp_gt_i32_e64 s[6:7], s33, v15
	v_or_b32_e32 v17, 28, v16
	v_add_u32_e32 v1, 0x100, v0
	s_mov_b32 s45, s24
	s_mov_b32 s46, s19
	;; [unrolled: 1-line block ×3, first 2 shown]
	v_add_u32_e32 v19, s16, v16
	s_lshl_b32 s61, s18, 2
	s_lshl_b64 s[26:27], s[24:25], 8
	s_sub_i32 s62, 0, s48
	v_mov_b32_e32 v4, v0
	v_mov_b32_e32 v5, v3
	v_mad_u64_u32 v[6:7], s[16:17], v0, s49, 0
	s_lshl_b64 s[30:31], s[14:15], 8
	v_mul_lo_u32 v20, s48, v15
	s_lshl_b32 s49, s48, 3
	v_add3_u32 v21, v8, 0, 8
	s_add_i32 s63, s63, 32
	v_lshlrev_b32_e32 v22, 2, v2
	s_mov_b32 s64, 0x4020100
	s_mov_b32 s65, s25
	s_branch .LBB30_64
.LBB30_63:                              ;   in Loop: Header=BB30_64 Depth=1
	s_or_b64 exec, exec, s[34:35]
	s_add_i32 s65, s65, s33
	s_add_i32 s25, s25, s55
	s_cmp_ge_i32 s65, s40
	v_add_u32_e32 v20, s55, v20
	s_waitcnt lgkmcnt(0)
	s_barrier
	s_cbranch_scc1 .LBB30_88
.LBB30_64:                              ; =>This Loop Header: Depth=1
                                        ;     Child Loop BB30_67 Depth 2
                                        ;     Child Loop BB30_73 Depth 2
	;; [unrolled: 1-line block ×4, first 2 shown]
                                        ;       Child Loop BB30_86 Depth 3
	s_and_saveexec_b64 s[16:17], s[0:1]
	s_cbranch_execz .LBB30_74
; %bb.65:                               ;   in Loop: Header=BB30_64 Depth=1
	s_mov_b64 s[14:15], -1
	v_mov_b32_e32 v23, v0
	v_mov_b32_e32 v8, v16
	v_pk_mov_b32 v[12:13], v[4:5], v[4:5] op_sel:[0,1]
	s_and_saveexec_b64 s[34:35], s[10:11]
	s_cbranch_execz .LBB30_71
; %bb.66:                               ;   in Loop: Header=BB30_64 Depth=1
	s_mov_b64 s[36:37], 0
	v_mov_b32_e32 v10, v18
	v_mov_b32_e32 v11, v19
	v_pk_mov_b32 v[8:9], v[0:1], v[0:1] op_sel:[0,1]
.LBB30_67:                              ;   Parent Loop BB30_64 Depth=1
                                        ; =>  This Inner Loop Header: Depth=2
	v_mul_hi_u32 v12, s24, v8
	v_mul_hi_u32 v13, s45, v9
	v_add_u32_e32 v13, v9, v13
	v_add_u32_e32 v12, v8, v12
	v_add_u32_e32 v10, -2, v10
	v_lshrrev_b32_e32 v12, s46, v12
	v_lshrrev_b32_e32 v13, s19, v13
	v_cmp_eq_u32_e64 s[14:15], 0, v10
	v_mul_lo_u32 v13, v13, s47
	v_mul_lo_u32 v12, v12, s18
	v_add_u32_e32 v9, 0x200, v9
	v_add_u32_e32 v8, 0x200, v8
	s_or_b64 s[36:37], s[14:15], s[36:37]
	v_lshl_add_u32 v12, v12, 2, v11
	v_lshl_add_u32 v13, v13, 2, v11
	v_add_u32_e32 v11, 0x800, v11
	ds_write_b32 v12, v3 offset:8
	ds_write_b32 v13, v3 offset:1032
	s_andn2_b64 exec, exec, s[36:37]
	s_cbranch_execnz .LBB30_67
; %bb.68:                               ;   in Loop: Header=BB30_64 Depth=1
	s_or_b64 exec, exec, s[36:37]
	s_mov_b64 s[14:15], 0
                                        ; implicit-def: $vgpr12_vgpr13
	s_and_saveexec_b64 s[36:37], s[12:13]
	s_xor_b64 s[36:37], exec, s[36:37]
; %bb.69:                               ;   in Loop: Header=BB30_64 Depth=1
	s_mov_b64 s[14:15], exec
	v_pk_mov_b32 v[12:13], v[2:3], v[2:3] op_sel:[0,1]
; %bb.70:                               ;   in Loop: Header=BB30_64 Depth=1
	s_or_b64 exec, exec, s[36:37]
	s_orn2_b64 s[14:15], s[14:15], exec
	v_mov_b32_e32 v23, v2
	v_mov_b32_e32 v8, v22
.LBB30_71:                              ;   in Loop: Header=BB30_64 Depth=1
	s_or_b64 exec, exec, s[34:35]
	s_and_b64 exec, exec, s[14:15]
	s_cbranch_execz .LBB30_74
; %bb.72:                               ;   in Loop: Header=BB30_64 Depth=1
	v_mad_u64_u32 v[10:11], s[14:15], s24, v12, 0
	v_mov_b32_e32 v12, v11
	v_mad_u64_u32 v[12:13], s[14:15], s24, v13, v[12:13]
	v_add_u32_e32 v8, s54, v8
	v_mov_b32_e32 v9, v12
	s_mov_b64 s[34:35], 0
.LBB30_73:                              ;   Parent Loop BB30_64 Depth=1
                                        ; =>  This Inner Loop Header: Depth=2
	v_mov_b32_e32 v12, s27
	v_add_co_u32_e64 v10, s[14:15], s26, v10
	v_add_u32_e32 v11, v23, v9
	v_add_u32_e32 v23, 0x100, v23
	v_addc_co_u32_e64 v9, s[14:15], v9, v12, s[14:15]
	v_lshrrev_b32_e32 v11, s19, v11
	v_cmp_le_i32_e64 s[14:15], s53, v23
	v_mad_u64_u32 v[12:13], s[36:37], s61, v11, v[8:9]
	v_add_u32_e32 v8, 0x400, v8
	s_or_b64 s[34:35], s[14:15], s[34:35]
	ds_write_b32 v12, v3
	s_andn2_b64 exec, exec, s[34:35]
	s_cbranch_execnz .LBB30_73
.LBB30_74:                              ;   in Loop: Header=BB30_64 Depth=1
	s_or_b64 exec, exec, s[16:17]
	s_waitcnt lgkmcnt(0)
	s_barrier
	s_and_saveexec_b64 s[16:17], vcc
	s_cbranch_execz .LBB30_79
; %bb.75:                               ;   in Loop: Header=BB30_64 Depth=1
	s_mov_b64 s[34:35], 0
	v_pk_mov_b32 v[8:9], v[6:7], v[6:7] op_sel:[0,1]
	v_mov_b32_e32 v10, v0
	s_branch .LBB30_77
.LBB30_76:                              ;   in Loop: Header=BB30_77 Depth=2
	s_or_b64 exec, exec, s[36:37]
	v_add_u32_e32 v10, 0x100, v10
	v_cmp_le_i32_e64 s[14:15], s55, v10
	v_mov_b32_e32 v11, s31
	s_or_b64 s[34:35], s[14:15], s[34:35]
	v_add_co_u32_e64 v8, s[14:15], s30, v8
	v_addc_co_u32_e64 v9, s[14:15], v9, v11, s[14:15]
	s_andn2_b64 exec, exec, s[34:35]
	s_cbranch_execz .LBB30_79
.LBB30_77:                              ;   Parent Loop BB30_64 Depth=1
                                        ; =>  This Inner Loop Header: Depth=2
	v_add_u32_e32 v11, v10, v9
	v_lshrrev_b32_e32 v11, s50, v11
	v_add_u32_e32 v12, s65, v11
	v_cmp_gt_i32_e64 s[14:15], s40, v12
	s_and_saveexec_b64 s[36:37], s[14:15]
	s_cbranch_execz .LBB30_76
; %bb.78:                               ;   in Loop: Header=BB30_77 Depth=2
	v_add_u32_e32 v12, s25, v10
	v_ashrrev_i32_e32 v13, 31, v12
	v_lshlrev_b64 v[12:13], 2, v[12:13]
	v_mov_b32_e32 v23, s29
	v_add_co_u32_e64 v12, s[14:15], s28, v12
	v_addc_co_u32_e64 v13, s[14:15], v23, v13, s[14:15]
	global_load_dword v12, v[12:13], off
	v_mul_lo_u32 v13, s62, v11
	v_mul_lo_u32 v11, v11, s52
	v_lshlrev_b32_e32 v11, 2, v11
	v_add3_u32 v13, v10, v13, 1
	s_waitcnt vmcnt(0)
	v_lshlrev_b32_e32 v12, 2, v12
	v_add3_u32 v11, s54, v12, v11
	ds_write_b32 v11, v13
	s_branch .LBB30_76
.LBB30_79:                              ;   in Loop: Header=BB30_64 Depth=1
	s_or_b64 exec, exec, s[16:17]
	s_waitcnt lgkmcnt(0)
	s_barrier
	s_and_saveexec_b64 s[34:35], s[2:3]
	s_cbranch_execz .LBB30_63
; %bb.80:                               ;   in Loop: Header=BB30_64 Depth=1
	s_mov_b64 s[36:37], 0
	v_mov_b32_e32 v8, v21
	v_mov_b32_e32 v9, v14
	s_branch .LBB30_83
.LBB30_81:                              ;   in Loop: Header=BB30_83 Depth=2
	s_or_b64 exec, exec, s[42:43]
.LBB30_82:                              ;   in Loop: Header=BB30_83 Depth=2
	s_or_b64 exec, exec, s[38:39]
	v_add_u32_e32 v9, 32, v9
	v_cmp_le_i32_e64 s[14:15], s41, v9
	s_or_b64 s[36:37], s[14:15], s[36:37]
	v_add_u32_e32 v8, 0x80, v8
	s_waitcnt lgkmcnt(0)
	ds_write_b32 v10, v11
	s_andn2_b64 exec, exec, s[36:37]
	s_cbranch_execz .LBB30_63
.LBB30_83:                              ;   Parent Loop BB30_64 Depth=1
                                        ; =>  This Loop Header: Depth=2
                                        ;       Child Loop BB30_86 Depth 3
	v_lshl_add_u32 v10, v9, 2, 0
	ds_read_b32 v11, v10
	s_and_saveexec_b64 s[38:39], s[6:7]
	s_cbranch_execz .LBB30_82
; %bb.84:                               ;   in Loop: Header=BB30_83 Depth=2
	s_mov_b64 s[42:43], 0
	v_mov_b32_e32 v12, v8
	v_mov_b32_e32 v13, v20
	;; [unrolled: 1-line block ×3, first 2 shown]
	s_branch .LBB30_86
.LBB30_85:                              ;   in Loop: Header=BB30_86 Depth=3
	s_or_b64 exec, exec, s[16:17]
	ds_bpermute_b32 v24, v17, v24
	v_add_u32_e32 v23, 8, v23
	v_cmp_le_i32_e64 s[14:15], s33, v23
	v_add_u32_e32 v13, s49, v13
	s_or_b64 s[42:43], s[14:15], s[42:43]
	s_waitcnt lgkmcnt(0)
	v_add_u32_e32 v11, v24, v11
	v_add_u32_e32 v12, s63, v12
	s_andn2_b64 exec, exec, s[42:43]
	s_cbranch_execz .LBB30_81
.LBB30_86:                              ;   Parent Loop BB30_64 Depth=1
                                        ;     Parent Loop BB30_83 Depth=2
                                        ; =>    This Inner Loop Header: Depth=3
	ds_read_b32 v25, v12
	s_waitcnt lgkmcnt(0)
	v_cmp_ne_u32_e64 s[14:15], 0, v25
	v_cndmask_b32_e64 v24, 0, 1, s[14:15]
	s_nop 1
	v_mov_b32_dpp v24, v24 row_shr:1 row_mask:0xf bank_mask:0xf bound_ctrl:1
	v_addc_co_u32_e64 v26, s[16:17], 0, v24, s[14:15]
	s_nop 1
	v_mov_b32_dpp v26, v26 row_shr:2 row_mask:0xf bank_mask:0xf bound_ctrl:1
	v_addc_co_u32_e64 v24, s[16:17], v26, v24, s[14:15]
	s_nop 1
	v_add_u32_dpp v24, v24, v24 row_shr:4 row_mask:0xf bank_mask:0xf bound_ctrl:1
	s_nop 1
	v_add_u32_dpp v24, v24, v24 row_shr:8 row_mask:0xf bank_mask:0xf bound_ctrl:1
	s_nop 1
	v_mov_b32_dpp v26, v24 row_newbcast:7 row_mask:0xf bank_mask:0xf bound_ctrl:1
	v_cndmask_b32_e64 v26, v26, 0, s[8:9]
	v_sub_u32_e32 v24, v24, v26
	s_and_saveexec_b64 s[16:17], s[14:15]
	s_cbranch_execz .LBB30_85
; %bb.87:                               ;   in Loop: Header=BB30_86 Depth=3
	v_add_u32_e32 v26, v13, v25
	v_ashrrev_i32_e32 v27, 31, v26
	v_lshlrev_b64 v[26:27], 2, v[26:27]
	v_mov_b32_e32 v28, s58
	v_add_co_u32_e64 v26, s[14:15], s57, v26
	v_addc_co_u32_e64 v27, s[14:15], v28, v27, s[14:15]
	global_load_dword v30, v[26:27], off
	v_add_u32_e32 v26, s65, v23
	v_perm_b32 v25, v25, v26, s64
	v_add_u32_e32 v26, v24, v11
	v_ashrrev_i32_e32 v27, 31, v26
	v_lshlrev_b64 v[26:27], 2, v[26:27]
	v_mov_b32_e32 v29, s56
	v_add_co_u32_e64 v28, s[14:15], s51, v26
	v_add_u32_e32 v25, 0xff000000, v25
	v_addc_co_u32_e64 v29, s[14:15], v29, v27, s[14:15]
	global_store_dword v[28:29], v25, off
	v_mov_b32_e32 v25, s60
	v_add_co_u32_e64 v26, s[14:15], s59, v26
	v_addc_co_u32_e64 v27, s[14:15], v25, v27, s[14:15]
	s_waitcnt vmcnt(1)
	global_store_dword v[26:27], v30, off
	s_branch .LBB30_85
.LBB30_88:
	s_and_saveexec_b64 s[0:1], s[4:5]
	s_cbranch_execz .LBB30_99
; %bb.89:
	s_and_b32 s0, s40, 0xffffff
	s_lshl_b32 s1, s48, 24
	s_or_b32 s4, s1, s0
	s_mov_b32 s5, s4
	s_add_i32 s44, s44, 4
	s_mov_b64 s[2:3], 0
	s_mov_b32 s8, 0
	v_mov_b32_e32 v1, 0
	s_branch .LBB30_91
.LBB30_90:                              ;   in Loop: Header=BB30_91 Depth=1
	s_or_b64 exec, exec, s[12:13]
	v_add_u32_e32 v0, 0x100, v0
	v_cmp_le_i32_e32 vcc, s41, v0
	s_or_b64 s[2:3], vcc, s[2:3]
	s_andn2_b64 exec, exec, s[2:3]
	s_cbranch_execz .LBB30_99
.LBB30_91:                              ; =>This Loop Header: Depth=1
                                        ;     Child Loop BB30_94 Depth 2
                                        ;     Child Loop BB30_98 Depth 2
	v_lshlrev_b32_e32 v2, 2, v0
	v_add_u32_e32 v3, 0, v2
	v_add_u32_e32 v4, s44, v2
	ds_read_b32 v2, v3
	ds_read_b32 v8, v4
	s_waitcnt lgkmcnt(0)
	v_cmp_gt_i32_e32 vcc, v8, v2
	s_and_saveexec_b64 s[12:13], vcc
	s_cbranch_execz .LBB30_90
; %bb.92:                               ;   in Loop: Header=BB30_91 Depth=1
	v_sub_u32_e32 v3, v8, v2
	v_cmp_lt_u32_e32 vcc, 15, v3
	s_mov_b64 s[6:7], -1
	s_and_saveexec_b64 s[0:1], vcc
	s_cbranch_execz .LBB30_96
; %bb.93:                               ;   in Loop: Header=BB30_91 Depth=1
	v_and_b32_e32 v6, -16, v3
	s_mov_b64 s[14:15], 0
	v_mov_b32_e32 v4, v2
	v_mov_b32_e32 v7, v6
.LBB30_94:                              ;   Parent Loop BB30_91 Depth=1
                                        ; =>  This Inner Loop Header: Depth=2
	v_ashrrev_i32_e32 v5, 31, v4
	v_lshlrev_b64 v[14:15], 2, v[4:5]
	v_mov_b32_e32 v5, s21
	v_add_co_u32_e32 v16, vcc, s20, v14
	v_addc_co_u32_e32 v17, vcc, v5, v15, vcc
	s_mov_b32 s6, s4
	s_mov_b32 s7, s5
	v_pk_mov_b32 v[12:13], s[6:7], s[6:7] op_sel:[0,1]
	v_mov_b32_e32 v5, s23
	v_add_co_u32_e32 v14, vcc, s22, v14
	v_pk_mov_b32 v[10:11], s[4:5], s[4:5] op_sel:[0,1]
	v_addc_co_u32_e32 v15, vcc, v5, v15, vcc
	s_mov_b32 s10, s8
	s_mov_b32 s11, s8
	v_add_u32_e32 v7, -16, v7
	global_store_dwordx4 v[16:17], v[10:13], off
	global_store_dwordx4 v[16:17], v[10:13], off offset:16
	global_store_dwordx4 v[16:17], v[10:13], off offset:32
	;; [unrolled: 1-line block ×3, first 2 shown]
	s_mov_b32 s9, s8
	v_pk_mov_b32 v[12:13], s[10:11], s[10:11] op_sel:[0,1]
	v_cmp_eq_u32_e32 vcc, 0, v7
	v_pk_mov_b32 v[10:11], s[8:9], s[8:9] op_sel:[0,1]
	s_or_b64 s[14:15], vcc, s[14:15]
	v_add_u32_e32 v4, 16, v4
	global_store_dwordx4 v[14:15], v[10:13], off
	global_store_dwordx4 v[14:15], v[10:13], off offset:16
	global_store_dwordx4 v[14:15], v[10:13], off offset:32
	;; [unrolled: 1-line block ×3, first 2 shown]
	s_andn2_b64 exec, exec, s[14:15]
	s_cbranch_execnz .LBB30_94
; %bb.95:                               ;   in Loop: Header=BB30_91 Depth=1
	s_or_b64 exec, exec, s[14:15]
	v_cmp_ne_u32_e32 vcc, v3, v6
	v_add_u32_e32 v2, v2, v6
	s_orn2_b64 s[6:7], vcc, exec
.LBB30_96:                              ;   in Loop: Header=BB30_91 Depth=1
	s_or_b64 exec, exec, s[0:1]
	s_and_b64 exec, exec, s[6:7]
	s_cbranch_execz .LBB30_90
; %bb.97:                               ;   in Loop: Header=BB30_91 Depth=1
	v_ashrrev_i32_e32 v3, 31, v2
	v_lshlrev_b64 v[6:7], 2, v[2:3]
	v_mov_b32_e32 v3, s21
	v_add_co_u32_e32 v4, vcc, s20, v6
	v_addc_co_u32_e32 v5, vcc, v3, v7, vcc
	v_mov_b32_e32 v3, s23
	v_add_co_u32_e32 v6, vcc, s22, v6
	v_addc_co_u32_e32 v7, vcc, v3, v7, vcc
	s_mov_b64 s[6:7], 0
.LBB30_98:                              ;   Parent Loop BB30_91 Depth=1
                                        ; =>  This Inner Loop Header: Depth=2
	global_store_dword v[6:7], v1, off
	v_add_co_u32_e32 v6, vcc, 4, v6
	v_mov_b32_e32 v3, s4
	v_add_u32_e32 v2, 1, v2
	v_addc_co_u32_e32 v7, vcc, 0, v7, vcc
	global_store_dword v[4:5], v3, off
	v_cmp_ge_i32_e32 vcc, v2, v8
	v_add_co_u32_e64 v4, s[0:1], 4, v4
	s_or_b64 s[6:7], vcc, s[6:7]
	v_addc_co_u32_e64 v5, vcc, 0, v5, s[0:1]
	s_andn2_b64 exec, exec, s[6:7]
	s_cbranch_execnz .LBB30_98
	s_branch .LBB30_90
.LBB30_99:
	s_endpgm
	.section	.rodata,"a",@progbits
	.p2align	6, 0x0
	.amdhsa_kernel _ZN5aiter22opus_moe_sorting_entryINS_16MoeSortingKernelINS_19MoeSortingProblemExIifLi4ELb0ELb0ELb0ELb1ELi0EEEEENS4_5KargsEEEvT0_
		.amdhsa_group_segment_fixed_size 0
		.amdhsa_private_segment_fixed_size 0
		.amdhsa_kernarg_size 400
		.amdhsa_user_sgpr_count 6
		.amdhsa_user_sgpr_private_segment_buffer 1
		.amdhsa_user_sgpr_dispatch_ptr 0
		.amdhsa_user_sgpr_queue_ptr 0
		.amdhsa_user_sgpr_kernarg_segment_ptr 1
		.amdhsa_user_sgpr_dispatch_id 0
		.amdhsa_user_sgpr_flat_scratch_init 0
		.amdhsa_user_sgpr_kernarg_preload_length 0
		.amdhsa_user_sgpr_kernarg_preload_offset 0
		.amdhsa_user_sgpr_private_segment_size 0
		.amdhsa_uses_dynamic_stack 0
		.amdhsa_system_sgpr_private_segment_wavefront_offset 0
		.amdhsa_system_sgpr_workgroup_id_x 1
		.amdhsa_system_sgpr_workgroup_id_y 0
		.amdhsa_system_sgpr_workgroup_id_z 0
		.amdhsa_system_sgpr_workgroup_info 0
		.amdhsa_system_vgpr_workitem_id 0
		.amdhsa_next_free_vgpr 31
		.amdhsa_next_free_sgpr 66
		.amdhsa_accum_offset 32
		.amdhsa_reserve_vcc 1
		.amdhsa_reserve_flat_scratch 0
		.amdhsa_float_round_mode_32 0
		.amdhsa_float_round_mode_16_64 0
		.amdhsa_float_denorm_mode_32 3
		.amdhsa_float_denorm_mode_16_64 3
		.amdhsa_dx10_clamp 1
		.amdhsa_ieee_mode 1
		.amdhsa_fp16_overflow 0
		.amdhsa_tg_split 0
		.amdhsa_exception_fp_ieee_invalid_op 0
		.amdhsa_exception_fp_denorm_src 0
		.amdhsa_exception_fp_ieee_div_zero 0
		.amdhsa_exception_fp_ieee_overflow 0
		.amdhsa_exception_fp_ieee_underflow 0
		.amdhsa_exception_fp_ieee_inexact 0
		.amdhsa_exception_int_div_zero 0
	.end_amdhsa_kernel
	.section	.text._ZN5aiter22opus_moe_sorting_entryINS_16MoeSortingKernelINS_19MoeSortingProblemExIifLi4ELb0ELb0ELb0ELb1ELi0EEEEENS4_5KargsEEEvT0_,"axG",@progbits,_ZN5aiter22opus_moe_sorting_entryINS_16MoeSortingKernelINS_19MoeSortingProblemExIifLi4ELb0ELb0ELb0ELb1ELi0EEEEENS4_5KargsEEEvT0_,comdat
.Lfunc_end30:
	.size	_ZN5aiter22opus_moe_sorting_entryINS_16MoeSortingKernelINS_19MoeSortingProblemExIifLi4ELb0ELb0ELb0ELb1ELi0EEEEENS4_5KargsEEEvT0_, .Lfunc_end30-_ZN5aiter22opus_moe_sorting_entryINS_16MoeSortingKernelINS_19MoeSortingProblemExIifLi4ELb0ELb0ELb0ELb1ELi0EEEEENS4_5KargsEEEvT0_
                                        ; -- End function
	.section	.AMDGPU.csdata,"",@progbits
; Kernel info:
; codeLenInByte = 4512
; NumSgprs: 70
; NumVgprs: 31
; NumAgprs: 0
; TotalNumVgprs: 31
; ScratchSize: 0
; MemoryBound: 0
; FloatMode: 240
; IeeeMode: 1
; LDSByteSize: 0 bytes/workgroup (compile time only)
; SGPRBlocks: 8
; VGPRBlocks: 3
; NumSGPRsForWavesPerEU: 70
; NumVGPRsForWavesPerEU: 31
; AccumOffset: 32
; Occupancy: 8
; WaveLimiterHint : 1
; COMPUTE_PGM_RSRC2:SCRATCH_EN: 0
; COMPUTE_PGM_RSRC2:USER_SGPR: 6
; COMPUTE_PGM_RSRC2:TRAP_HANDLER: 0
; COMPUTE_PGM_RSRC2:TGID_X_EN: 1
; COMPUTE_PGM_RSRC2:TGID_Y_EN: 0
; COMPUTE_PGM_RSRC2:TGID_Z_EN: 0
; COMPUTE_PGM_RSRC2:TIDIG_COMP_CNT: 0
; COMPUTE_PGM_RSRC3_GFX90A:ACCUM_OFFSET: 7
; COMPUTE_PGM_RSRC3_GFX90A:TG_SPLIT: 0
	.section	.text._ZN5aiter22opus_moe_sorting_entryINS_16MoeSortingKernelINS_19MoeSortingProblemExIifLi2ELb0ELb0ELb0ELb1ELi0EEEEENS4_5KargsEEEvT0_,"axG",@progbits,_ZN5aiter22opus_moe_sorting_entryINS_16MoeSortingKernelINS_19MoeSortingProblemExIifLi2ELb0ELb0ELb0ELb1ELi0EEEEENS4_5KargsEEEvT0_,comdat
	.protected	_ZN5aiter22opus_moe_sorting_entryINS_16MoeSortingKernelINS_19MoeSortingProblemExIifLi2ELb0ELb0ELb0ELb1ELi0EEEEENS4_5KargsEEEvT0_ ; -- Begin function _ZN5aiter22opus_moe_sorting_entryINS_16MoeSortingKernelINS_19MoeSortingProblemExIifLi2ELb0ELb0ELb0ELb1ELi0EEEEENS4_5KargsEEEvT0_
	.globl	_ZN5aiter22opus_moe_sorting_entryINS_16MoeSortingKernelINS_19MoeSortingProblemExIifLi2ELb0ELb0ELb0ELb1ELi0EEEEENS4_5KargsEEEvT0_
	.p2align	8
	.type	_ZN5aiter22opus_moe_sorting_entryINS_16MoeSortingKernelINS_19MoeSortingProblemExIifLi2ELb0ELb0ELb0ELb1ELi0EEEEENS4_5KargsEEEvT0_,@function
_ZN5aiter22opus_moe_sorting_entryINS_16MoeSortingKernelINS_19MoeSortingProblemExIifLi2ELb0ELb0ELb0ELb1ELi0EEEEENS4_5KargsEEEvT0_: ; @_ZN5aiter22opus_moe_sorting_entryINS_16MoeSortingKernelINS_19MoeSortingProblemExIifLi2ELb0ELb0ELb0ELb1ELi0EEEEENS4_5KargsEEEvT0_
; %bb.0:
	s_load_dwordx8 s[20:27], s[4:5], 0x20
	s_load_dwordx8 s[36:43], s[4:5], 0x40
	s_cmp_eq_u32 s6, 0
	s_cbranch_scc1 .LBB31_7
; %bb.1:
	s_waitcnt lgkmcnt(0)
	s_cmp_eq_u64 s[36:37], 0
	s_mov_b64 s[2:3], 0
	s_cbranch_scc1 .LBB31_6
; %bb.2:
	s_mul_i32 s1, s42, s40
	s_ashr_i32 s7, s43, 31
	s_mul_hi_i32 s0, s42, s40
	s_mul_i32 s7, s1, s7
	s_mul_hi_u32 s8, s1, s43
	s_add_i32 s7, s8, s7
	s_mul_i32 s0, s0, s43
	s_add_i32 s8, s7, s0
	s_ashr_i32 s0, s8, 31
	s_mul_i32 s1, s1, s43
	s_lshr_b32 s0, s0, 28
	s_add_u32 s0, s1, s0
	s_addc_u32 s1, s8, 0
	v_lshl_add_u32 v1, s6, 8, v0
	s_ashr_i64 s[8:9], s[0:1], 4
	v_add_u32_e32 v2, 0xffffff00, v1
	v_mov_b32_e32 v3, 0
	s_mov_b32 s7, 0
	v_cmp_gt_i64_e32 vcc, s[8:9], v[2:3]
	s_and_saveexec_b64 s[10:11], vcc
	s_cbranch_execz .LBB31_5
; %bb.3:
	s_load_dword s0, s[4:5], 0x90
	v_lshlrev_b64 v[4:5], 4, v[2:3]
	v_mov_b32_e32 v1, s37
	v_add_co_u32_e32 v8, vcc, s36, v4
	s_waitcnt lgkmcnt(0)
	s_lshl_b32 s0, s0, 8
	s_add_i32 s6, s0, 0xffffff00
	s_lshl_b64 s[12:13], s[6:7], 4
	v_pk_mov_b32 v[6:7], v[2:3], v[2:3] op_sel:[0,1]
	v_addc_co_u32_e32 v9, vcc, v1, v5, vcc
	s_mov_b64 s[14:15], 0
	v_mov_b32_e32 v2, v3
	v_mov_b32_e32 v4, v3
	;; [unrolled: 1-line block ×5, first 2 shown]
.LBB31_4:                               ; =>This Inner Loop Header: Depth=1
	v_add_co_u32_e32 v6, vcc, s6, v6
	v_addc_co_u32_e32 v7, vcc, v7, v1, vcc
	global_store_dwordx4 v[8:9], v[2:5], off
	v_add_co_u32_e32 v8, vcc, s12, v8
	v_cmp_le_i64_e64 s[0:1], s[8:9], v[6:7]
	s_or_b64 s[14:15], s[0:1], s[14:15]
	v_addc_co_u32_e32 v9, vcc, v9, v10, vcc
	s_andn2_b64 exec, exec, s[14:15]
	s_cbranch_execnz .LBB31_4
.LBB31_5:
	s_or_b64 exec, exec, s[10:11]
.LBB31_6:
	s_andn2_b64 vcc, exec, s[2:3]
	s_cbranch_vccz .LBB31_8
	s_branch .LBB31_99
.LBB31_7:
.LBB31_8:
	s_load_dwordx8 s[44:51], s[4:5], 0x64
	s_load_dwordx4 s[28:31], s[4:5], 0x0
	s_load_dwordx2 s[18:19], s[4:5], 0x84
	v_lshrrev_b32_e32 v1, 6, v0
	v_readfirstlane_b32 s16, v1
	s_waitcnt lgkmcnt(0)
	s_add_i32 s33, s44, -2
	s_mul_i32 s53, s33, s41
	s_add_i32 s52, s41, 1
	v_cmp_gt_i32_e64 s[0:1], s53, v0
	v_xad_u32 v8, v0, -1, s53
	s_and_saveexec_b64 s[2:3], s[0:1]
	s_cbranch_execz .LBB31_18
; %bb.9:
	s_movk_i32 s6, 0xff
	s_mov_b32 s5, 0
	s_mov_b32 s4, s18
	s_sub_i32 s10, s52, s51
	v_cmp_lt_u32_e32 vcc, s6, v8
	s_mov_b64 s[8:9], 0
                                        ; implicit-def: $vgpr1
                                        ; implicit-def: $sgpr11
	s_and_saveexec_b64 s[6:7], vcc
	s_xor_b64 s[6:7], exec, s[6:7]
	s_cbranch_execnz .LBB31_12
; %bb.10:
	s_or_saveexec_b64 s[6:7], s[6:7]
	v_mov_b32_e32 v2, s11
	s_xor_b64 exec, exec, s[6:7]
	s_cbranch_execnz .LBB31_15
.LBB31_11:
	s_or_b64 exec, exec, s[6:7]
	s_and_b64 exec, exec, s[8:9]
	s_cbranch_execnz .LBB31_16
	s_branch .LBB31_18
.LBB31_12:
	v_lshrrev_b32_e32 v1, 8, v8
	v_add_u32_e32 v4, 1, v1
	s_lshl_b32 s11, s41, 3
	v_and_b32_e32 v5, 0x1fffffe, v4
	v_add_u32_e32 v1, 0x100, v0
	s_add_i32 s8, s11, 0
	s_mov_b32 s12, s4
	s_mov_b32 s13, s19
	;; [unrolled: 1-line block ×4, first 2 shown]
	v_lshl_add_u32 v6, v0, 2, s8
	s_mov_b64 s[8:9], 0
	v_mov_b32_e32 v7, 0
	v_mov_b32_e32 v9, v5
	v_pk_mov_b32 v[2:3], v[0:1], v[0:1] op_sel:[0,1]
.LBB31_13:                              ; =>This Inner Loop Header: Depth=1
	v_mul_hi_u32 v1, s4, v2
	v_mul_hi_u32 v10, s12, v3
	v_add_u32_e32 v10, v3, v10
	v_add_u32_e32 v1, v2, v1
	v_add_u32_e32 v9, -2, v9
	v_lshrrev_b32_e32 v1, s13, v1
	v_lshrrev_b32_e32 v10, s14, v10
	v_cmp_eq_u32_e32 vcc, 0, v9
	v_mul_lo_u32 v10, v10, s15
	v_mul_lo_u32 v1, v1, s10
	v_add_u32_e32 v3, 0x200, v3
	v_add_u32_e32 v2, 0x200, v2
	s_or_b64 s[8:9], vcc, s[8:9]
	v_lshl_add_u32 v1, v1, 2, v6
	v_lshl_add_u32 v10, v10, 2, v6
	v_add_u32_e32 v6, 0x800, v6
	ds_write_b32 v1, v7 offset:8
	ds_write_b32 v10, v7 offset:1032
	s_andn2_b64 exec, exec, s[8:9]
	s_cbranch_execnz .LBB31_13
; %bb.14:
	s_or_b64 exec, exec, s[8:9]
	v_cmp_ne_u32_e32 vcc, v4, v5
	v_lshl_add_u32 v1, v5, 8, v0
	s_and_b64 s[8:9], vcc, exec
	s_or_saveexec_b64 s[6:7], s[6:7]
	v_mov_b32_e32 v2, s11
	s_xor_b64 exec, exec, s[6:7]
	s_cbranch_execz .LBB31_11
.LBB31_15:
	s_lshl_b32 s11, s41, 3
	v_mov_b32_e32 v2, s11
	s_or_b64 s[8:9], s[8:9], exec
	v_mov_b32_e32 v1, v0
	s_or_b64 exec, exec, s[6:7]
	s_and_b64 exec, exec, s[8:9]
	s_cbranch_execz .LBB31_18
.LBB31_16:
	v_lshl_add_u32 v2, v1, 2, v2
	v_mad_u64_u32 v[4:5], s[6:7], v1, s4, 0
	s_lshl_b64 s[4:5], s[4:5], 8
	s_lshl_b32 s8, s10, 2
	v_add3_u32 v2, v2, 0, 8
	s_mov_b64 s[6:7], 0
	v_mov_b32_e32 v3, 0
	v_mov_b32_e32 v6, s5
.LBB31_17:                              ; =>This Inner Loop Header: Depth=1
	v_add_co_u32_e32 v4, vcc, s4, v4
	v_add_u32_e32 v7, v1, v5
	v_add_u32_e32 v1, 0x100, v1
	v_addc_co_u32_e32 v5, vcc, v5, v6, vcc
	v_lshrrev_b32_e32 v7, s19, v7
	v_cmp_le_i32_e32 vcc, s53, v1
	v_mad_u64_u32 v[10:11], s[10:11], s8, v7, v[2:3]
	v_add_u32_e32 v2, 0x400, v2
	s_or_b64 s[6:7], vcc, s[6:7]
	ds_write_b32 v10, v3
	s_andn2_b64 exec, exec, s[6:7]
	s_cbranch_execnz .LBB31_17
.LBB31_18:
	s_or_b64 exec, exec, s[2:3]
	s_lshl_b32 s2, s52, 3
	s_add_i32 s54, s2, 0
	s_cmp_gt_i32 s40, 0
	s_mul_i32 s55, s48, s33
	s_mov_b32 s5, 0
	s_cselect_b64 s[10:11], -1, 0
	s_cmp_lt_i32 s40, 1
	v_cmp_gt_i32_e32 vcc, s55, v0
	s_waitcnt lgkmcnt(0)
	s_barrier
	s_cbranch_scc1 .LBB31_26
; %bb.19:
	s_mov_b32 s4, s49
	v_mad_u64_u32 v[2:3], s[2:3], v0, s49, 0
	s_lshl_b64 s[6:7], s[4:5], 8
	v_mov_b32_e32 v5, 0
	s_mov_b32 s4, 0
	s_branch .LBB31_21
.LBB31_20:                              ;   in Loop: Header=BB31_21 Depth=1
	s_or_b64 exec, exec, s[8:9]
	s_add_i32 s4, s4, s33
	s_add_i32 s5, s5, s55
	s_cmp_ge_i32 s4, s40
	s_barrier
	s_cbranch_scc1 .LBB31_26
.LBB31_21:                              ; =>This Loop Header: Depth=1
                                        ;     Child Loop BB31_24 Depth 2
	s_and_saveexec_b64 s[8:9], vcc
	s_cbranch_execz .LBB31_20
; %bb.22:                               ;   in Loop: Header=BB31_21 Depth=1
	s_mov_b64 s[12:13], 0
	v_pk_mov_b32 v[6:7], v[2:3], v[2:3] op_sel:[0,1]
	v_mov_b32_e32 v1, v0
	s_branch .LBB31_24
.LBB31_23:                              ;   in Loop: Header=BB31_24 Depth=2
	s_or_b64 exec, exec, s[14:15]
	v_add_u32_e32 v1, 0x100, v1
	v_cmp_le_i32_e64 s[2:3], s55, v1
	v_mov_b32_e32 v4, s7
	s_or_b64 s[12:13], s[2:3], s[12:13]
	v_add_co_u32_e64 v6, s[2:3], s6, v6
	v_addc_co_u32_e64 v7, s[2:3], v7, v4, s[2:3]
	s_waitcnt lgkmcnt(0)
	s_andn2_b64 exec, exec, s[12:13]
	s_cbranch_execz .LBB31_20
.LBB31_24:                              ;   Parent Loop BB31_21 Depth=1
                                        ; =>  This Inner Loop Header: Depth=2
	v_add_u32_e32 v4, v1, v7
	v_lshrrev_b32_e32 v9, s50, v4
	v_add_u32_e32 v4, s4, v9
	v_cmp_gt_i32_e64 s[2:3], s40, v4
	s_and_saveexec_b64 s[14:15], s[2:3]
	s_cbranch_execz .LBB31_23
; %bb.25:                               ;   in Loop: Header=BB31_24 Depth=2
	v_add_u32_e32 v4, s5, v1
	v_lshlrev_b64 v[10:11], 2, v[4:5]
	v_mov_b32_e32 v4, s29
	v_add_co_u32_e64 v10, s[2:3], s28, v10
	v_addc_co_u32_e64 v11, s[2:3], v4, v11, s[2:3]
	global_load_dword v4, v[10:11], off
	v_mul_lo_u32 v9, v9, s52
	v_lshlrev_b32_e32 v9, 2, v9
	s_waitcnt vmcnt(0)
	v_lshlrev_b32_e32 v4, 2, v4
	v_add3_u32 v4, s54, v4, v9
	ds_read_b32 v9, v4
	s_waitcnt lgkmcnt(0)
	v_add_u32_e32 v9, 1, v9
	ds_write_b32 v4, v9
	s_branch .LBB31_23
.LBB31_26:
	v_cmp_eq_u32_e32 vcc, 0, v0
	s_and_saveexec_b64 s[2:3], vcc
	s_cbranch_execz .LBB31_28
; %bb.27:
	v_mov_b32_e32 v1, 0
	ds_write_b32 v1, v1
.LBB31_28:
	s_or_b64 exec, exec, s[2:3]
	v_mbcnt_lo_u32_b32 v1, -1, 0
	v_and_b32_e32 v15, 7, v0
	v_mbcnt_hi_u32_b32 v11, -1, v1
	v_lshrrev_b32_e32 v14, 3, v0
	v_mul_lo_u32 v1, s52, v15
	v_cmp_gt_i32_e64 s[2:3], s41, v14
	v_lshlrev_b32_e32 v9, 2, v1
	v_lshlrev_b32_e32 v10, 2, v14
	s_and_saveexec_b64 s[8:9], s[2:3]
	s_cbranch_execz .LBB31_36
; %bb.29:
	s_cmp_gt_i32 s44, 2
	s_mul_i32 s6, s41, 40
	v_add3_u32 v4, v9, s6, v10
	s_cselect_b64 s[6:7], -1, 0
	s_lshl_b32 s12, s41, 3
	v_lshlrev_b32_e32 v3, 2, v11
	s_lshl_b32 s17, s41, 6
	v_add3_u32 v5, v9, s12, v10
	v_cndmask_b32_e64 v6, 0, 1, s[6:7]
	v_xor_b32_e32 v1, 4, v3
	v_xor_b32_e32 v2, 8, v3
	;; [unrolled: 1-line block ×3, first 2 shown]
	v_cmp_eq_u32_e64 s[4:5], 0, v15
	v_add3_u32 v4, v4, 0, 40
	s_add_i32 s17, s17, 64
	v_add3_u32 v5, v5, 0, 8
	s_mov_b64 s[12:13], 0
	v_cmp_ne_u32_e64 s[6:7], 1, v6
	v_mov_b32_e32 v6, v14
	s_branch .LBB31_31
.LBB31_30:                              ;   in Loop: Header=BB31_31 Depth=1
	s_or_b64 exec, exec, s[14:15]
	v_add_u32_e32 v6, 32, v6
	v_cmp_le_i32_e32 vcc, s41, v6
	v_add_u32_e32 v4, 0x80, v4
	s_or_b64 s[12:13], vcc, s[12:13]
	v_add_u32_e32 v5, 0x80, v5
	s_andn2_b64 exec, exec, s[12:13]
	s_cbranch_execz .LBB31_36
.LBB31_31:                              ; =>This Loop Header: Depth=1
                                        ;     Child Loop BB31_33 Depth 2
	s_and_b64 vcc, exec, s[6:7]
	v_mov_b32_e32 v7, 0
	s_cbranch_vccnz .LBB31_34
; %bb.32:                               ;   in Loop: Header=BB31_31 Depth=1
	s_mov_b32 s14, 0
	v_mov_b32_e32 v7, 0
	s_mov_b32 s15, 0
.LBB31_33:                              ;   Parent Loop BB31_31 Depth=1
                                        ; =>  This Inner Loop Header: Depth=2
	v_add_u32_e32 v12, s14, v5
	v_add_u32_e32 v13, s14, v4
	ds_read_b32 v12, v12
	ds_read_b32 v13, v13
	s_add_i32 s15, s15, 16
	s_add_i32 s14, s14, s17
	s_cmp_lt_i32 s15, s33
	s_waitcnt lgkmcnt(1)
	ds_bpermute_b32 v16, v1, v12
	s_waitcnt lgkmcnt(1)
	ds_bpermute_b32 v17, v1, v13
	s_waitcnt lgkmcnt(1)
	v_add_u32_e32 v12, v16, v12
	s_waitcnt lgkmcnt(0)
	v_add_u32_e32 v13, v17, v13
	ds_bpermute_b32 v16, v2, v12
	ds_bpermute_b32 v17, v2, v13
	s_waitcnt lgkmcnt(1)
	v_add_u32_e32 v12, v16, v12
	s_waitcnt lgkmcnt(0)
	v_add_u32_e32 v13, v17, v13
	ds_bpermute_b32 v16, v3, v12
	ds_bpermute_b32 v17, v3, v13
	s_waitcnt lgkmcnt(1)
	v_add3_u32 v7, v12, v7, v16
	s_waitcnt lgkmcnt(0)
	v_add3_u32 v7, v7, v13, v17
	s_cbranch_scc1 .LBB31_33
.LBB31_34:                              ;   in Loop: Header=BB31_31 Depth=1
	s_and_saveexec_b64 s[14:15], s[4:5]
	s_cbranch_execz .LBB31_30
; %bb.35:                               ;   in Loop: Header=BB31_31 Depth=1
	v_lshl_add_u32 v12, v6, 2, 0
	ds_write_b32 v12, v7 offset:4
	s_branch .LBB31_30
.LBB31_36:
	s_or_b64 exec, exec, s[8:9]
	s_cmp_lg_u32 s16, 0
	s_mov_b32 s14, 0
	s_waitcnt lgkmcnt(0)
	s_barrier
	s_cbranch_scc1 .LBB31_45
; %bb.37:
	s_cmp_lt_i32 s41, 1
	v_mov_b32_e32 v2, 0
	s_cbranch_scc1 .LBB31_42
; %bb.38:
	v_lshlrev_b32_e32 v2, 2, v11
	v_and_b32_e32 v3, 0xc0, v2
	v_cmp_eq_u32_e32 vcc, 0, v11
	s_add_i32 s15, s45, -1
	v_add_u32_e32 v1, -4, v3
	v_cmp_lt_u32_e64 s[4:5], 15, v11
	v_add_u32_e32 v3, 0xffffffbc, v3
	v_cmp_lt_u32_e64 s[6:7], 31, v11
	v_add3_u32 v4, v2, 0, 4
	s_branch .LBB31_40
.LBB31_39:                              ;   in Loop: Header=BB31_40 Depth=1
	s_or_b64 exec, exec, s[12:13]
	s_add_i32 s14, s14, 64
	s_cmp_lt_i32 s14, s41
	v_add_u32_e32 v4, 0x100, v4
	s_waitcnt lgkmcnt(0)
	s_cbranch_scc0 .LBB31_42
.LBB31_40:                              ; =>This Inner Loop Header: Depth=1
	ds_read_b32 v5, v4
	v_mov_b32_e32 v2, s14
	v_cndmask_b32_e32 v2, 0, v2, vcc
	v_lshl_add_u32 v2, v2, 2, 0
	ds_read_b32 v2, v2
	s_waitcnt lgkmcnt(1)
	v_add_u32_e32 v5, s15, v5
	v_mul_hi_u32 v6, v5, s46
	v_add_u32_e32 v5, v5, v6
	v_lshrrev_b32_e32 v5, s47, v5
	s_waitcnt lgkmcnt(0)
	v_mad_u64_u32 v[6:7], s[8:9], v5, s45, v[2:3]
	s_nop 1
	v_add_u32_dpp v2, v6, v6 row_shr:1 row_mask:0xf bank_mask:0xf bound_ctrl:1
	v_add_u32_e32 v6, s14, v11
	v_cmp_gt_i32_e64 s[8:9], s41, v6
	v_add_u32_dpp v2, v2, v2 row_shr:2 row_mask:0xf bank_mask:0xf bound_ctrl:1
	s_nop 1
	v_add_u32_dpp v2, v2, v2 row_shr:4 row_mask:0xf bank_mask:0xf bound_ctrl:1
	s_nop 1
	v_add_u32_dpp v2, v2, v2 row_shr:8 row_mask:0xf bank_mask:0xf bound_ctrl:1
	ds_bpermute_b32 v5, v1, v2
	s_waitcnt lgkmcnt(0)
	v_cndmask_b32_e64 v5, 0, v5, s[4:5]
	v_add_u32_e32 v2, v2, v5
	ds_bpermute_b32 v5, v3, v2
	s_waitcnt lgkmcnt(0)
	v_cndmask_b32_e64 v5, 0, v5, s[6:7]
	v_add_u32_e32 v2, v2, v5
	s_and_saveexec_b64 s[12:13], s[8:9]
	s_cbranch_execz .LBB31_39
; %bb.41:                               ;   in Loop: Header=BB31_40 Depth=1
	ds_write_b32 v4, v2
	s_branch .LBB31_39
.LBB31_42:
	v_add_u32_e32 v1, s14, v11
	v_subrev_u32_e32 v1, 63, v1
	v_cmp_eq_u32_e32 vcc, s41, v1
	s_and_saveexec_b64 s[4:5], vcc
	s_cbranch_execz .LBB31_44
; %bb.43:
	v_mov_b32_e32 v1, 0
	v_mov_b32_e32 v3, s40
	global_store_dwordx2 v1, v[2:3], s[26:27]
.LBB31_44:
	s_or_b64 exec, exec, s[4:5]
.LBB31_45:
	s_cmp_eq_u64 s[38:39], 0
	s_barrier
	s_cbranch_scc1 .LBB31_55
; %bb.46:
	s_mul_i32 s14, s48, s40
	v_cmp_gt_i32_e32 vcc, s14, v0
	s_and_saveexec_b64 s[6:7], vcc
	s_cbranch_execz .LBB31_54
; %bb.47:
	v_xad_u32 v1, v0, -1, s14
	s_movk_i32 s4, 0xff
	v_cmp_lt_u32_e32 vcc, s4, v1
	s_mov_b64 s[4:5], -1
	v_mov_b32_e32 v2, v0
	s_and_saveexec_b64 s[8:9], vcc
	s_cbranch_execz .LBB31_51
; %bb.48:
	v_lshrrev_b32_e32 v1, 8, v1
	v_add_u32_e32 v6, 1, v1
	v_and_b32_e32 v7, 0x1fffffe, v6
	v_add_u32_e32 v1, 0x100, v0
	s_mov_b64 s[12:13], 0
	v_mov_b32_e32 v12, s29
	v_mov_b32_e32 v13, s39
	v_mov_b32_e32 v3, 0
	v_mov_b32_e32 v16, v7
	v_pk_mov_b32 v[4:5], v[0:1], v[0:1] op_sel:[0,1]
.LBB31_49:                              ; =>This Inner Loop Header: Depth=1
	v_mov_b32_e32 v2, v4
	v_lshlrev_b64 v[18:19], 2, v[2:3]
	v_mov_b32_e32 v2, v5
	v_add_co_u32_e32 v20, vcc, s28, v18
	v_addc_co_u32_e32 v21, vcc, v12, v19, vcc
	v_lshlrev_b64 v[22:23], 2, v[2:3]
	v_add_co_u32_e32 v24, vcc, s28, v22
	v_addc_co_u32_e32 v25, vcc, v12, v23, vcc
	global_load_dword v1, v[20:21], off
	global_load_dword v2, v[24:25], off
	v_add_u32_e32 v16, -2, v16
	v_cmp_eq_u32_e32 vcc, 0, v16
	v_add_co_u32_e64 v18, s[4:5], s38, v18
	v_add_u32_e32 v4, 0x200, v4
	v_add_u32_e32 v5, 0x200, v5
	v_addc_co_u32_e64 v19, s[4:5], v13, v19, s[4:5]
	s_or_b64 s[12:13], vcc, s[12:13]
	v_add_co_u32_e32 v20, vcc, s38, v22
	v_addc_co_u32_e32 v21, vcc, v13, v23, vcc
	s_waitcnt vmcnt(1)
	global_store_dword v[18:19], v1, off
	s_waitcnt vmcnt(1)
	global_store_dword v[20:21], v2, off
	s_andn2_b64 exec, exec, s[12:13]
	s_cbranch_execnz .LBB31_49
; %bb.50:
	s_or_b64 exec, exec, s[12:13]
	v_cmp_ne_u32_e32 vcc, v6, v7
	v_lshl_add_u32 v2, v7, 8, v0
	s_orn2_b64 s[4:5], vcc, exec
.LBB31_51:
	s_or_b64 exec, exec, s[8:9]
	s_and_b64 exec, exec, s[4:5]
	s_cbranch_execz .LBB31_54
; %bb.52:
	v_mov_b32_e32 v3, 0
	v_lshlrev_b64 v[6:7], 2, v[2:3]
	v_mov_b32_e32 v1, s29
	v_add_co_u32_e32 v4, vcc, s28, v6
	v_addc_co_u32_e32 v5, vcc, v1, v7, vcc
	v_mov_b32_e32 v1, s39
	v_add_co_u32_e32 v6, vcc, s38, v6
	v_addc_co_u32_e32 v7, vcc, v1, v7, vcc
	s_mov_b64 s[4:5], 0
.LBB31_53:                              ; =>This Inner Loop Header: Depth=1
	global_load_dword v1, v[4:5], off
	v_add_co_u32_e32 v4, vcc, 0x400, v4
	v_add_u32_e32 v2, 0x100, v2
	v_addc_co_u32_e32 v5, vcc, 0, v5, vcc
	v_cmp_le_i32_e32 vcc, s14, v2
	s_or_b64 s[4:5], vcc, s[4:5]
	s_waitcnt vmcnt(0)
	global_store_dword v[6:7], v1, off
	v_add_co_u32_e32 v6, vcc, 0x400, v6
	v_addc_co_u32_e32 v7, vcc, 0, v7, vcc
	s_andn2_b64 exec, exec, s[4:5]
	s_cbranch_execnz .LBB31_53
.LBB31_54:
	s_or_b64 exec, exec, s[6:7]
	s_barrier
.LBB31_55:
	s_lshl_b32 s16, s41, 2
	s_add_i32 s17, s16, 0
	s_add_i32 s44, s17, 4
	v_cmp_gt_i32_e64 s[4:5], s41, v0
	s_and_saveexec_b64 s[6:7], s[4:5]
	s_cbranch_execz .LBB31_61
; %bb.56:
	s_mov_b64 s[8:9], 0
	v_mov_b32_e32 v3, 0
	v_mov_b32_e32 v1, v0
	s_branch .LBB31_58
.LBB31_57:                              ;   in Loop: Header=BB31_58 Depth=1
	s_or_b64 exec, exec, s[12:13]
	v_add_u32_e32 v1, 0x100, v1
	v_cmp_le_i32_e32 vcc, s41, v1
	s_or_b64 s[8:9], vcc, s[8:9]
	s_andn2_b64 exec, exec, s[8:9]
	s_cbranch_execz .LBB31_61
.LBB31_58:                              ; =>This Loop Header: Depth=1
                                        ;     Child Loop BB31_60 Depth 2
	v_lshlrev_b32_e32 v2, 2, v1
	v_add_u32_e32 v4, 0, v2
	ds_read2_b32 v[4:5], v4 offset1:1
	v_add_u32_e32 v2, s44, v2
	s_waitcnt lgkmcnt(0)
	v_cmp_lt_i32_e32 vcc, v4, v5
	ds_write_b32 v2, v4
	s_and_saveexec_b64 s[12:13], vcc
	s_cbranch_execz .LBB31_57
; %bb.59:                               ;   in Loop: Header=BB31_58 Depth=1
	s_mov_b64 s[14:15], 0
.LBB31_60:                              ;   Parent Loop BB31_58 Depth=1
                                        ; =>  This Inner Loop Header: Depth=2
	v_mul_hi_u32 v2, s46, v4
	v_add_u32_e32 v2, v4, v2
	v_add_u32_e32 v4, s45, v4
	v_lshrrev_b32_e32 v2, s47, v2
	v_cmp_ge_i32_e32 vcc, v4, v5
	v_lshlrev_b64 v[6:7], 2, v[2:3]
	v_mov_b32_e32 v12, s25
	s_or_b64 s[14:15], vcc, s[14:15]
	v_add_co_u32_e32 v6, vcc, s24, v6
	v_addc_co_u32_e32 v7, vcc, v12, v7, vcc
	global_store_dword v[6:7], v1, off
	s_andn2_b64 exec, exec, s[14:15]
	s_cbranch_execnz .LBB31_60
	s_branch .LBB31_57
.LBB31_61:
	s_or_b64 exec, exec, s[6:7]
	v_mov_b32_e32 v1, s17
	s_waitcnt lgkmcnt(0)
	s_barrier
	ds_read_b32 v1, v1
	s_add_i32 s6, s17, s16
	v_mov_b32_e32 v2, s6
	s_andn2_b64 vcc, exec, s[10:11]
	s_waitcnt lgkmcnt(0)
	ds_write_b32 v2, v1 offset:4
	s_cbranch_vccnz .LBB31_88
; %bb.62:
	s_mov_b32 s24, s18
	s_sub_i32 s18, s52, s51
	s_add_u32 s51, s20, -4
	s_addc_u32 s56, s21, -1
	v_and_b32_e32 v1, 8, v11
	s_add_u32 s57, s30, -4
	v_cmp_eq_u32_e64 s[8:9], 0, v1
	v_lshrrev_b32_e32 v1, 8, v8
	s_addc_u32 s58, s31, -1
	v_add_u32_e32 v3, 1, v1
	s_add_u32 s59, s22, -4
	s_mov_b32 s25, 0
	s_movk_i32 s10, 0xff
	v_and_b32_e32 v18, 0x1fffffe, v3
	s_addc_u32 s60, s23, -1
	s_lshl_b32 s34, s41, 3
	s_mov_b32 s14, s49
	s_mov_b32 s15, s25
	v_lshlrev_b32_e32 v16, 2, v0
	v_cmp_lt_u32_e64 s[10:11], s10, v8
	v_lshl_add_u32 v2, v18, 8, v0
	v_cmp_ne_u32_e64 s[12:13], v3, v18
	s_add_i32 s16, s34, 0
	v_mov_b32_e32 v3, 0
	v_add3_u32 v8, v9, s34, v10
	s_lshl_b32 s63, s41, 5
	v_cmp_gt_i32_e32 vcc, s55, v0
	v_cmp_gt_i32_e64 s[6:7], s33, v15
	v_or_b32_e32 v17, 28, v16
	v_add_u32_e32 v1, 0x100, v0
	s_mov_b32 s45, s24
	s_mov_b32 s46, s19
	;; [unrolled: 1-line block ×3, first 2 shown]
	v_add_u32_e32 v19, s16, v16
	s_lshl_b32 s61, s18, 2
	s_lshl_b64 s[26:27], s[24:25], 8
	s_sub_i32 s62, 0, s48
	v_mov_b32_e32 v4, v0
	v_mov_b32_e32 v5, v3
	v_mad_u64_u32 v[6:7], s[16:17], v0, s49, 0
	s_lshl_b64 s[30:31], s[14:15], 8
	v_mul_lo_u32 v20, s48, v15
	s_lshl_b32 s49, s48, 3
	v_add3_u32 v21, v8, 0, 8
	s_add_i32 s63, s63, 32
	v_lshlrev_b32_e32 v22, 2, v2
	s_mov_b32 s64, 0x4020100
	s_mov_b32 s65, s25
	s_branch .LBB31_64
.LBB31_63:                              ;   in Loop: Header=BB31_64 Depth=1
	s_or_b64 exec, exec, s[34:35]
	s_add_i32 s65, s65, s33
	s_add_i32 s25, s25, s55
	s_cmp_ge_i32 s65, s40
	v_add_u32_e32 v20, s55, v20
	s_waitcnt lgkmcnt(0)
	s_barrier
	s_cbranch_scc1 .LBB31_88
.LBB31_64:                              ; =>This Loop Header: Depth=1
                                        ;     Child Loop BB31_67 Depth 2
                                        ;     Child Loop BB31_73 Depth 2
	;; [unrolled: 1-line block ×4, first 2 shown]
                                        ;       Child Loop BB31_86 Depth 3
	s_and_saveexec_b64 s[16:17], s[0:1]
	s_cbranch_execz .LBB31_74
; %bb.65:                               ;   in Loop: Header=BB31_64 Depth=1
	s_mov_b64 s[14:15], -1
	v_mov_b32_e32 v23, v0
	v_mov_b32_e32 v8, v16
	v_pk_mov_b32 v[12:13], v[4:5], v[4:5] op_sel:[0,1]
	s_and_saveexec_b64 s[34:35], s[10:11]
	s_cbranch_execz .LBB31_71
; %bb.66:                               ;   in Loop: Header=BB31_64 Depth=1
	s_mov_b64 s[36:37], 0
	v_mov_b32_e32 v10, v18
	v_mov_b32_e32 v11, v19
	v_pk_mov_b32 v[8:9], v[0:1], v[0:1] op_sel:[0,1]
.LBB31_67:                              ;   Parent Loop BB31_64 Depth=1
                                        ; =>  This Inner Loop Header: Depth=2
	v_mul_hi_u32 v12, s24, v8
	v_mul_hi_u32 v13, s45, v9
	v_add_u32_e32 v13, v9, v13
	v_add_u32_e32 v12, v8, v12
	v_add_u32_e32 v10, -2, v10
	v_lshrrev_b32_e32 v12, s46, v12
	v_lshrrev_b32_e32 v13, s19, v13
	v_cmp_eq_u32_e64 s[14:15], 0, v10
	v_mul_lo_u32 v13, v13, s47
	v_mul_lo_u32 v12, v12, s18
	v_add_u32_e32 v9, 0x200, v9
	v_add_u32_e32 v8, 0x200, v8
	s_or_b64 s[36:37], s[14:15], s[36:37]
	v_lshl_add_u32 v12, v12, 2, v11
	v_lshl_add_u32 v13, v13, 2, v11
	v_add_u32_e32 v11, 0x800, v11
	ds_write_b32 v12, v3 offset:8
	ds_write_b32 v13, v3 offset:1032
	s_andn2_b64 exec, exec, s[36:37]
	s_cbranch_execnz .LBB31_67
; %bb.68:                               ;   in Loop: Header=BB31_64 Depth=1
	s_or_b64 exec, exec, s[36:37]
	s_mov_b64 s[14:15], 0
                                        ; implicit-def: $vgpr12_vgpr13
	s_and_saveexec_b64 s[36:37], s[12:13]
	s_xor_b64 s[36:37], exec, s[36:37]
; %bb.69:                               ;   in Loop: Header=BB31_64 Depth=1
	s_mov_b64 s[14:15], exec
	v_pk_mov_b32 v[12:13], v[2:3], v[2:3] op_sel:[0,1]
; %bb.70:                               ;   in Loop: Header=BB31_64 Depth=1
	s_or_b64 exec, exec, s[36:37]
	s_orn2_b64 s[14:15], s[14:15], exec
	v_mov_b32_e32 v23, v2
	v_mov_b32_e32 v8, v22
.LBB31_71:                              ;   in Loop: Header=BB31_64 Depth=1
	s_or_b64 exec, exec, s[34:35]
	s_and_b64 exec, exec, s[14:15]
	s_cbranch_execz .LBB31_74
; %bb.72:                               ;   in Loop: Header=BB31_64 Depth=1
	v_mad_u64_u32 v[10:11], s[14:15], s24, v12, 0
	v_mov_b32_e32 v12, v11
	v_mad_u64_u32 v[12:13], s[14:15], s24, v13, v[12:13]
	v_add_u32_e32 v8, s54, v8
	v_mov_b32_e32 v9, v12
	s_mov_b64 s[34:35], 0
.LBB31_73:                              ;   Parent Loop BB31_64 Depth=1
                                        ; =>  This Inner Loop Header: Depth=2
	v_mov_b32_e32 v12, s27
	v_add_co_u32_e64 v10, s[14:15], s26, v10
	v_add_u32_e32 v11, v23, v9
	v_add_u32_e32 v23, 0x100, v23
	v_addc_co_u32_e64 v9, s[14:15], v9, v12, s[14:15]
	v_lshrrev_b32_e32 v11, s19, v11
	v_cmp_le_i32_e64 s[14:15], s53, v23
	v_mad_u64_u32 v[12:13], s[36:37], s61, v11, v[8:9]
	v_add_u32_e32 v8, 0x400, v8
	s_or_b64 s[34:35], s[14:15], s[34:35]
	ds_write_b32 v12, v3
	s_andn2_b64 exec, exec, s[34:35]
	s_cbranch_execnz .LBB31_73
.LBB31_74:                              ;   in Loop: Header=BB31_64 Depth=1
	s_or_b64 exec, exec, s[16:17]
	s_waitcnt lgkmcnt(0)
	s_barrier
	s_and_saveexec_b64 s[16:17], vcc
	s_cbranch_execz .LBB31_79
; %bb.75:                               ;   in Loop: Header=BB31_64 Depth=1
	s_mov_b64 s[34:35], 0
	v_pk_mov_b32 v[8:9], v[6:7], v[6:7] op_sel:[0,1]
	v_mov_b32_e32 v10, v0
	s_branch .LBB31_77
.LBB31_76:                              ;   in Loop: Header=BB31_77 Depth=2
	s_or_b64 exec, exec, s[36:37]
	v_add_u32_e32 v10, 0x100, v10
	v_cmp_le_i32_e64 s[14:15], s55, v10
	v_mov_b32_e32 v11, s31
	s_or_b64 s[34:35], s[14:15], s[34:35]
	v_add_co_u32_e64 v8, s[14:15], s30, v8
	v_addc_co_u32_e64 v9, s[14:15], v9, v11, s[14:15]
	s_andn2_b64 exec, exec, s[34:35]
	s_cbranch_execz .LBB31_79
.LBB31_77:                              ;   Parent Loop BB31_64 Depth=1
                                        ; =>  This Inner Loop Header: Depth=2
	v_add_u32_e32 v11, v10, v9
	v_lshrrev_b32_e32 v11, s50, v11
	v_add_u32_e32 v12, s65, v11
	v_cmp_gt_i32_e64 s[14:15], s40, v12
	s_and_saveexec_b64 s[36:37], s[14:15]
	s_cbranch_execz .LBB31_76
; %bb.78:                               ;   in Loop: Header=BB31_77 Depth=2
	v_add_u32_e32 v12, s25, v10
	v_ashrrev_i32_e32 v13, 31, v12
	v_lshlrev_b64 v[12:13], 2, v[12:13]
	v_mov_b32_e32 v23, s29
	v_add_co_u32_e64 v12, s[14:15], s28, v12
	v_addc_co_u32_e64 v13, s[14:15], v23, v13, s[14:15]
	global_load_dword v12, v[12:13], off
	v_mul_lo_u32 v13, s62, v11
	v_mul_lo_u32 v11, v11, s52
	v_lshlrev_b32_e32 v11, 2, v11
	v_add3_u32 v13, v10, v13, 1
	s_waitcnt vmcnt(0)
	v_lshlrev_b32_e32 v12, 2, v12
	v_add3_u32 v11, s54, v12, v11
	ds_write_b32 v11, v13
	s_branch .LBB31_76
.LBB31_79:                              ;   in Loop: Header=BB31_64 Depth=1
	s_or_b64 exec, exec, s[16:17]
	s_waitcnt lgkmcnt(0)
	s_barrier
	s_and_saveexec_b64 s[34:35], s[2:3]
	s_cbranch_execz .LBB31_63
; %bb.80:                               ;   in Loop: Header=BB31_64 Depth=1
	s_mov_b64 s[36:37], 0
	v_mov_b32_e32 v8, v21
	v_mov_b32_e32 v9, v14
	s_branch .LBB31_83
.LBB31_81:                              ;   in Loop: Header=BB31_83 Depth=2
	s_or_b64 exec, exec, s[42:43]
.LBB31_82:                              ;   in Loop: Header=BB31_83 Depth=2
	s_or_b64 exec, exec, s[38:39]
	v_add_u32_e32 v9, 32, v9
	v_cmp_le_i32_e64 s[14:15], s41, v9
	s_or_b64 s[36:37], s[14:15], s[36:37]
	v_add_u32_e32 v8, 0x80, v8
	s_waitcnt lgkmcnt(0)
	ds_write_b32 v10, v11
	s_andn2_b64 exec, exec, s[36:37]
	s_cbranch_execz .LBB31_63
.LBB31_83:                              ;   Parent Loop BB31_64 Depth=1
                                        ; =>  This Loop Header: Depth=2
                                        ;       Child Loop BB31_86 Depth 3
	v_lshl_add_u32 v10, v9, 2, 0
	ds_read_b32 v11, v10
	s_and_saveexec_b64 s[38:39], s[6:7]
	s_cbranch_execz .LBB31_82
; %bb.84:                               ;   in Loop: Header=BB31_83 Depth=2
	s_mov_b64 s[42:43], 0
	v_mov_b32_e32 v12, v8
	v_mov_b32_e32 v13, v20
	;; [unrolled: 1-line block ×3, first 2 shown]
	s_branch .LBB31_86
.LBB31_85:                              ;   in Loop: Header=BB31_86 Depth=3
	s_or_b64 exec, exec, s[16:17]
	ds_bpermute_b32 v24, v17, v24
	v_add_u32_e32 v23, 8, v23
	v_cmp_le_i32_e64 s[14:15], s33, v23
	v_add_u32_e32 v13, s49, v13
	s_or_b64 s[42:43], s[14:15], s[42:43]
	s_waitcnt lgkmcnt(0)
	v_add_u32_e32 v11, v24, v11
	v_add_u32_e32 v12, s63, v12
	s_andn2_b64 exec, exec, s[42:43]
	s_cbranch_execz .LBB31_81
.LBB31_86:                              ;   Parent Loop BB31_64 Depth=1
                                        ;     Parent Loop BB31_83 Depth=2
                                        ; =>    This Inner Loop Header: Depth=3
	ds_read_b32 v25, v12
	s_waitcnt lgkmcnt(0)
	v_cmp_ne_u32_e64 s[14:15], 0, v25
	v_cndmask_b32_e64 v24, 0, 1, s[14:15]
	s_nop 1
	v_mov_b32_dpp v24, v24 row_shr:1 row_mask:0xf bank_mask:0xf bound_ctrl:1
	v_addc_co_u32_e64 v26, s[16:17], 0, v24, s[14:15]
	s_nop 1
	v_mov_b32_dpp v26, v26 row_shr:2 row_mask:0xf bank_mask:0xf bound_ctrl:1
	v_addc_co_u32_e64 v24, s[16:17], v26, v24, s[14:15]
	s_nop 1
	v_add_u32_dpp v24, v24, v24 row_shr:4 row_mask:0xf bank_mask:0xf bound_ctrl:1
	s_nop 1
	v_add_u32_dpp v24, v24, v24 row_shr:8 row_mask:0xf bank_mask:0xf bound_ctrl:1
	s_nop 1
	v_mov_b32_dpp v26, v24 row_newbcast:7 row_mask:0xf bank_mask:0xf bound_ctrl:1
	v_cndmask_b32_e64 v26, v26, 0, s[8:9]
	v_sub_u32_e32 v24, v24, v26
	s_and_saveexec_b64 s[16:17], s[14:15]
	s_cbranch_execz .LBB31_85
; %bb.87:                               ;   in Loop: Header=BB31_86 Depth=3
	v_add_u32_e32 v26, v13, v25
	v_ashrrev_i32_e32 v27, 31, v26
	v_lshlrev_b64 v[26:27], 2, v[26:27]
	v_mov_b32_e32 v28, s58
	v_add_co_u32_e64 v26, s[14:15], s57, v26
	v_addc_co_u32_e64 v27, s[14:15], v28, v27, s[14:15]
	global_load_dword v30, v[26:27], off
	v_add_u32_e32 v26, s65, v23
	v_perm_b32 v25, v25, v26, s64
	v_add_u32_e32 v26, v24, v11
	v_ashrrev_i32_e32 v27, 31, v26
	v_lshlrev_b64 v[26:27], 2, v[26:27]
	v_mov_b32_e32 v29, s56
	v_add_co_u32_e64 v28, s[14:15], s51, v26
	v_add_u32_e32 v25, 0xff000000, v25
	v_addc_co_u32_e64 v29, s[14:15], v29, v27, s[14:15]
	global_store_dword v[28:29], v25, off
	v_mov_b32_e32 v25, s60
	v_add_co_u32_e64 v26, s[14:15], s59, v26
	v_addc_co_u32_e64 v27, s[14:15], v25, v27, s[14:15]
	s_waitcnt vmcnt(1)
	global_store_dword v[26:27], v30, off
	s_branch .LBB31_85
.LBB31_88:
	s_and_saveexec_b64 s[0:1], s[4:5]
	s_cbranch_execz .LBB31_99
; %bb.89:
	s_and_b32 s0, s40, 0xffffff
	s_lshl_b32 s1, s48, 24
	s_or_b32 s4, s1, s0
	s_mov_b32 s5, s4
	s_add_i32 s44, s44, 4
	s_mov_b64 s[2:3], 0
	s_mov_b32 s8, 0
	v_mov_b32_e32 v1, 0
	s_branch .LBB31_91
.LBB31_90:                              ;   in Loop: Header=BB31_91 Depth=1
	s_or_b64 exec, exec, s[12:13]
	v_add_u32_e32 v0, 0x100, v0
	v_cmp_le_i32_e32 vcc, s41, v0
	s_or_b64 s[2:3], vcc, s[2:3]
	s_andn2_b64 exec, exec, s[2:3]
	s_cbranch_execz .LBB31_99
.LBB31_91:                              ; =>This Loop Header: Depth=1
                                        ;     Child Loop BB31_94 Depth 2
                                        ;     Child Loop BB31_98 Depth 2
	v_lshlrev_b32_e32 v2, 2, v0
	v_add_u32_e32 v3, 0, v2
	v_add_u32_e32 v4, s44, v2
	ds_read_b32 v2, v3
	ds_read_b32 v8, v4
	s_waitcnt lgkmcnt(0)
	v_cmp_gt_i32_e32 vcc, v8, v2
	s_and_saveexec_b64 s[12:13], vcc
	s_cbranch_execz .LBB31_90
; %bb.92:                               ;   in Loop: Header=BB31_91 Depth=1
	v_sub_u32_e32 v3, v8, v2
	v_cmp_lt_u32_e32 vcc, 15, v3
	s_mov_b64 s[6:7], -1
	s_and_saveexec_b64 s[0:1], vcc
	s_cbranch_execz .LBB31_96
; %bb.93:                               ;   in Loop: Header=BB31_91 Depth=1
	v_and_b32_e32 v6, -16, v3
	s_mov_b64 s[14:15], 0
	v_mov_b32_e32 v4, v2
	v_mov_b32_e32 v7, v6
.LBB31_94:                              ;   Parent Loop BB31_91 Depth=1
                                        ; =>  This Inner Loop Header: Depth=2
	v_ashrrev_i32_e32 v5, 31, v4
	v_lshlrev_b64 v[14:15], 2, v[4:5]
	v_mov_b32_e32 v5, s21
	v_add_co_u32_e32 v16, vcc, s20, v14
	v_addc_co_u32_e32 v17, vcc, v5, v15, vcc
	s_mov_b32 s6, s4
	s_mov_b32 s7, s5
	v_pk_mov_b32 v[12:13], s[6:7], s[6:7] op_sel:[0,1]
	v_mov_b32_e32 v5, s23
	v_add_co_u32_e32 v14, vcc, s22, v14
	v_pk_mov_b32 v[10:11], s[4:5], s[4:5] op_sel:[0,1]
	v_addc_co_u32_e32 v15, vcc, v5, v15, vcc
	s_mov_b32 s10, s8
	s_mov_b32 s11, s8
	v_add_u32_e32 v7, -16, v7
	global_store_dwordx4 v[16:17], v[10:13], off
	global_store_dwordx4 v[16:17], v[10:13], off offset:16
	global_store_dwordx4 v[16:17], v[10:13], off offset:32
	;; [unrolled: 1-line block ×3, first 2 shown]
	s_mov_b32 s9, s8
	v_pk_mov_b32 v[12:13], s[10:11], s[10:11] op_sel:[0,1]
	v_cmp_eq_u32_e32 vcc, 0, v7
	v_pk_mov_b32 v[10:11], s[8:9], s[8:9] op_sel:[0,1]
	s_or_b64 s[14:15], vcc, s[14:15]
	v_add_u32_e32 v4, 16, v4
	global_store_dwordx4 v[14:15], v[10:13], off
	global_store_dwordx4 v[14:15], v[10:13], off offset:16
	global_store_dwordx4 v[14:15], v[10:13], off offset:32
	;; [unrolled: 1-line block ×3, first 2 shown]
	s_andn2_b64 exec, exec, s[14:15]
	s_cbranch_execnz .LBB31_94
; %bb.95:                               ;   in Loop: Header=BB31_91 Depth=1
	s_or_b64 exec, exec, s[14:15]
	v_cmp_ne_u32_e32 vcc, v3, v6
	v_add_u32_e32 v2, v2, v6
	s_orn2_b64 s[6:7], vcc, exec
.LBB31_96:                              ;   in Loop: Header=BB31_91 Depth=1
	s_or_b64 exec, exec, s[0:1]
	s_and_b64 exec, exec, s[6:7]
	s_cbranch_execz .LBB31_90
; %bb.97:                               ;   in Loop: Header=BB31_91 Depth=1
	v_ashrrev_i32_e32 v3, 31, v2
	v_lshlrev_b64 v[6:7], 2, v[2:3]
	v_mov_b32_e32 v3, s21
	v_add_co_u32_e32 v4, vcc, s20, v6
	v_addc_co_u32_e32 v5, vcc, v3, v7, vcc
	v_mov_b32_e32 v3, s23
	v_add_co_u32_e32 v6, vcc, s22, v6
	v_addc_co_u32_e32 v7, vcc, v3, v7, vcc
	s_mov_b64 s[6:7], 0
.LBB31_98:                              ;   Parent Loop BB31_91 Depth=1
                                        ; =>  This Inner Loop Header: Depth=2
	global_store_dword v[6:7], v1, off
	v_add_co_u32_e32 v6, vcc, 4, v6
	v_mov_b32_e32 v3, s4
	v_add_u32_e32 v2, 1, v2
	v_addc_co_u32_e32 v7, vcc, 0, v7, vcc
	global_store_dword v[4:5], v3, off
	v_cmp_ge_i32_e32 vcc, v2, v8
	v_add_co_u32_e64 v4, s[0:1], 4, v4
	s_or_b64 s[6:7], vcc, s[6:7]
	v_addc_co_u32_e64 v5, vcc, 0, v5, s[0:1]
	s_andn2_b64 exec, exec, s[6:7]
	s_cbranch_execnz .LBB31_98
	s_branch .LBB31_90
.LBB31_99:
	s_endpgm
	.section	.rodata,"a",@progbits
	.p2align	6, 0x0
	.amdhsa_kernel _ZN5aiter22opus_moe_sorting_entryINS_16MoeSortingKernelINS_19MoeSortingProblemExIifLi2ELb0ELb0ELb0ELb1ELi0EEEEENS4_5KargsEEEvT0_
		.amdhsa_group_segment_fixed_size 0
		.amdhsa_private_segment_fixed_size 0
		.amdhsa_kernarg_size 400
		.amdhsa_user_sgpr_count 6
		.amdhsa_user_sgpr_private_segment_buffer 1
		.amdhsa_user_sgpr_dispatch_ptr 0
		.amdhsa_user_sgpr_queue_ptr 0
		.amdhsa_user_sgpr_kernarg_segment_ptr 1
		.amdhsa_user_sgpr_dispatch_id 0
		.amdhsa_user_sgpr_flat_scratch_init 0
		.amdhsa_user_sgpr_kernarg_preload_length 0
		.amdhsa_user_sgpr_kernarg_preload_offset 0
		.amdhsa_user_sgpr_private_segment_size 0
		.amdhsa_uses_dynamic_stack 0
		.amdhsa_system_sgpr_private_segment_wavefront_offset 0
		.amdhsa_system_sgpr_workgroup_id_x 1
		.amdhsa_system_sgpr_workgroup_id_y 0
		.amdhsa_system_sgpr_workgroup_id_z 0
		.amdhsa_system_sgpr_workgroup_info 0
		.amdhsa_system_vgpr_workitem_id 0
		.amdhsa_next_free_vgpr 31
		.amdhsa_next_free_sgpr 66
		.amdhsa_accum_offset 32
		.amdhsa_reserve_vcc 1
		.amdhsa_reserve_flat_scratch 0
		.amdhsa_float_round_mode_32 0
		.amdhsa_float_round_mode_16_64 0
		.amdhsa_float_denorm_mode_32 3
		.amdhsa_float_denorm_mode_16_64 3
		.amdhsa_dx10_clamp 1
		.amdhsa_ieee_mode 1
		.amdhsa_fp16_overflow 0
		.amdhsa_tg_split 0
		.amdhsa_exception_fp_ieee_invalid_op 0
		.amdhsa_exception_fp_denorm_src 0
		.amdhsa_exception_fp_ieee_div_zero 0
		.amdhsa_exception_fp_ieee_overflow 0
		.amdhsa_exception_fp_ieee_underflow 0
		.amdhsa_exception_fp_ieee_inexact 0
		.amdhsa_exception_int_div_zero 0
	.end_amdhsa_kernel
	.section	.text._ZN5aiter22opus_moe_sorting_entryINS_16MoeSortingKernelINS_19MoeSortingProblemExIifLi2ELb0ELb0ELb0ELb1ELi0EEEEENS4_5KargsEEEvT0_,"axG",@progbits,_ZN5aiter22opus_moe_sorting_entryINS_16MoeSortingKernelINS_19MoeSortingProblemExIifLi2ELb0ELb0ELb0ELb1ELi0EEEEENS4_5KargsEEEvT0_,comdat
.Lfunc_end31:
	.size	_ZN5aiter22opus_moe_sorting_entryINS_16MoeSortingKernelINS_19MoeSortingProblemExIifLi2ELb0ELb0ELb0ELb1ELi0EEEEENS4_5KargsEEEvT0_, .Lfunc_end31-_ZN5aiter22opus_moe_sorting_entryINS_16MoeSortingKernelINS_19MoeSortingProblemExIifLi2ELb0ELb0ELb0ELb1ELi0EEEEENS4_5KargsEEEvT0_
                                        ; -- End function
	.section	.AMDGPU.csdata,"",@progbits
; Kernel info:
; codeLenInByte = 4296
; NumSgprs: 70
; NumVgprs: 31
; NumAgprs: 0
; TotalNumVgprs: 31
; ScratchSize: 0
; MemoryBound: 0
; FloatMode: 240
; IeeeMode: 1
; LDSByteSize: 0 bytes/workgroup (compile time only)
; SGPRBlocks: 8
; VGPRBlocks: 3
; NumSGPRsForWavesPerEU: 70
; NumVGPRsForWavesPerEU: 31
; AccumOffset: 32
; Occupancy: 8
; WaveLimiterHint : 1
; COMPUTE_PGM_RSRC2:SCRATCH_EN: 0
; COMPUTE_PGM_RSRC2:USER_SGPR: 6
; COMPUTE_PGM_RSRC2:TRAP_HANDLER: 0
; COMPUTE_PGM_RSRC2:TGID_X_EN: 1
; COMPUTE_PGM_RSRC2:TGID_Y_EN: 0
; COMPUTE_PGM_RSRC2:TGID_Z_EN: 0
; COMPUTE_PGM_RSRC2:TIDIG_COMP_CNT: 0
; COMPUTE_PGM_RSRC3_GFX90A:ACCUM_OFFSET: 7
; COMPUTE_PGM_RSRC3_GFX90A:TG_SPLIT: 0
	.section	.text._ZN5aiter22opus_moe_sorting_entryINS_16MoeSortingKernelINS_19MoeSortingProblemExIifLi1ELb0ELb0ELb0ELb1ELi0EEEEENS4_5KargsEEEvT0_,"axG",@progbits,_ZN5aiter22opus_moe_sorting_entryINS_16MoeSortingKernelINS_19MoeSortingProblemExIifLi1ELb0ELb0ELb0ELb1ELi0EEEEENS4_5KargsEEEvT0_,comdat
	.protected	_ZN5aiter22opus_moe_sorting_entryINS_16MoeSortingKernelINS_19MoeSortingProblemExIifLi1ELb0ELb0ELb0ELb1ELi0EEEEENS4_5KargsEEEvT0_ ; -- Begin function _ZN5aiter22opus_moe_sorting_entryINS_16MoeSortingKernelINS_19MoeSortingProblemExIifLi1ELb0ELb0ELb0ELb1ELi0EEEEENS4_5KargsEEEvT0_
	.globl	_ZN5aiter22opus_moe_sorting_entryINS_16MoeSortingKernelINS_19MoeSortingProblemExIifLi1ELb0ELb0ELb0ELb1ELi0EEEEENS4_5KargsEEEvT0_
	.p2align	8
	.type	_ZN5aiter22opus_moe_sorting_entryINS_16MoeSortingKernelINS_19MoeSortingProblemExIifLi1ELb0ELb0ELb0ELb1ELi0EEEEENS4_5KargsEEEvT0_,@function
_ZN5aiter22opus_moe_sorting_entryINS_16MoeSortingKernelINS_19MoeSortingProblemExIifLi1ELb0ELb0ELb0ELb1ELi0EEEEENS4_5KargsEEEvT0_: ; @_ZN5aiter22opus_moe_sorting_entryINS_16MoeSortingKernelINS_19MoeSortingProblemExIifLi1ELb0ELb0ELb0ELb1ELi0EEEEENS4_5KargsEEEvT0_
; %bb.0:
	s_load_dwordx8 s[20:27], s[4:5], 0x20
	s_load_dwordx8 s[36:43], s[4:5], 0x40
	s_cmp_eq_u32 s6, 0
	s_cbranch_scc1 .LBB32_7
; %bb.1:
	s_waitcnt lgkmcnt(0)
	s_cmp_eq_u64 s[36:37], 0
	s_mov_b64 s[2:3], 0
	s_cbranch_scc1 .LBB32_6
; %bb.2:
	s_mul_i32 s1, s42, s40
	s_ashr_i32 s7, s43, 31
	s_mul_hi_i32 s0, s42, s40
	s_mul_i32 s7, s1, s7
	s_mul_hi_u32 s8, s1, s43
	s_add_i32 s7, s8, s7
	s_mul_i32 s0, s0, s43
	s_add_i32 s8, s7, s0
	s_ashr_i32 s0, s8, 31
	s_mul_i32 s1, s1, s43
	s_lshr_b32 s0, s0, 28
	s_add_u32 s0, s1, s0
	s_addc_u32 s1, s8, 0
	v_lshl_add_u32 v1, s6, 8, v0
	s_ashr_i64 s[8:9], s[0:1], 4
	v_add_u32_e32 v2, 0xffffff00, v1
	v_mov_b32_e32 v3, 0
	s_mov_b32 s7, 0
	v_cmp_gt_i64_e32 vcc, s[8:9], v[2:3]
	s_and_saveexec_b64 s[10:11], vcc
	s_cbranch_execz .LBB32_5
; %bb.3:
	s_load_dword s0, s[4:5], 0x90
	v_lshlrev_b64 v[4:5], 4, v[2:3]
	v_mov_b32_e32 v1, s37
	v_add_co_u32_e32 v8, vcc, s36, v4
	s_waitcnt lgkmcnt(0)
	s_lshl_b32 s0, s0, 8
	s_add_i32 s6, s0, 0xffffff00
	s_lshl_b64 s[12:13], s[6:7], 4
	v_pk_mov_b32 v[6:7], v[2:3], v[2:3] op_sel:[0,1]
	v_addc_co_u32_e32 v9, vcc, v1, v5, vcc
	s_mov_b64 s[14:15], 0
	v_mov_b32_e32 v2, v3
	v_mov_b32_e32 v4, v3
	;; [unrolled: 1-line block ×5, first 2 shown]
.LBB32_4:                               ; =>This Inner Loop Header: Depth=1
	v_add_co_u32_e32 v6, vcc, s6, v6
	v_addc_co_u32_e32 v7, vcc, v7, v1, vcc
	global_store_dwordx4 v[8:9], v[2:5], off
	v_add_co_u32_e32 v8, vcc, s12, v8
	v_cmp_le_i64_e64 s[0:1], s[8:9], v[6:7]
	s_or_b64 s[14:15], s[0:1], s[14:15]
	v_addc_co_u32_e32 v9, vcc, v9, v10, vcc
	s_andn2_b64 exec, exec, s[14:15]
	s_cbranch_execnz .LBB32_4
.LBB32_5:
	s_or_b64 exec, exec, s[10:11]
.LBB32_6:
	s_andn2_b64 vcc, exec, s[2:3]
	s_cbranch_vccz .LBB32_8
	s_branch .LBB32_99
.LBB32_7:
.LBB32_8:
	s_load_dwordx8 s[44:51], s[4:5], 0x64
	s_load_dwordx4 s[28:31], s[4:5], 0x0
	s_load_dwordx2 s[18:19], s[4:5], 0x84
	v_lshrrev_b32_e32 v1, 6, v0
	v_readfirstlane_b32 s16, v1
	s_waitcnt lgkmcnt(0)
	s_add_i32 s33, s44, -2
	s_mul_i32 s53, s33, s41
	s_add_i32 s52, s41, 1
	v_cmp_gt_i32_e64 s[0:1], s53, v0
	v_xad_u32 v8, v0, -1, s53
	s_and_saveexec_b64 s[2:3], s[0:1]
	s_cbranch_execz .LBB32_18
; %bb.9:
	s_movk_i32 s6, 0xff
	s_mov_b32 s5, 0
	s_mov_b32 s4, s18
	s_sub_i32 s10, s52, s51
	v_cmp_lt_u32_e32 vcc, s6, v8
	s_mov_b64 s[8:9], 0
                                        ; implicit-def: $vgpr1
                                        ; implicit-def: $sgpr11
	s_and_saveexec_b64 s[6:7], vcc
	s_xor_b64 s[6:7], exec, s[6:7]
	s_cbranch_execnz .LBB32_12
; %bb.10:
	s_or_saveexec_b64 s[6:7], s[6:7]
	v_mov_b32_e32 v2, s11
	s_xor_b64 exec, exec, s[6:7]
	s_cbranch_execnz .LBB32_15
.LBB32_11:
	s_or_b64 exec, exec, s[6:7]
	s_and_b64 exec, exec, s[8:9]
	s_cbranch_execnz .LBB32_16
	s_branch .LBB32_18
.LBB32_12:
	v_lshrrev_b32_e32 v1, 8, v8
	v_add_u32_e32 v4, 1, v1
	s_lshl_b32 s11, s41, 3
	v_and_b32_e32 v5, 0x1fffffe, v4
	v_add_u32_e32 v1, 0x100, v0
	s_add_i32 s8, s11, 0
	s_mov_b32 s12, s4
	s_mov_b32 s13, s19
	;; [unrolled: 1-line block ×4, first 2 shown]
	v_lshl_add_u32 v6, v0, 2, s8
	s_mov_b64 s[8:9], 0
	v_mov_b32_e32 v7, 0
	v_mov_b32_e32 v9, v5
	v_pk_mov_b32 v[2:3], v[0:1], v[0:1] op_sel:[0,1]
.LBB32_13:                              ; =>This Inner Loop Header: Depth=1
	v_mul_hi_u32 v1, s4, v2
	v_mul_hi_u32 v10, s12, v3
	v_add_u32_e32 v10, v3, v10
	v_add_u32_e32 v1, v2, v1
	v_add_u32_e32 v9, -2, v9
	v_lshrrev_b32_e32 v1, s13, v1
	v_lshrrev_b32_e32 v10, s14, v10
	v_cmp_eq_u32_e32 vcc, 0, v9
	v_mul_lo_u32 v10, v10, s15
	v_mul_lo_u32 v1, v1, s10
	v_add_u32_e32 v3, 0x200, v3
	v_add_u32_e32 v2, 0x200, v2
	s_or_b64 s[8:9], vcc, s[8:9]
	v_lshl_add_u32 v1, v1, 2, v6
	v_lshl_add_u32 v10, v10, 2, v6
	v_add_u32_e32 v6, 0x800, v6
	ds_write_b32 v1, v7 offset:8
	ds_write_b32 v10, v7 offset:1032
	s_andn2_b64 exec, exec, s[8:9]
	s_cbranch_execnz .LBB32_13
; %bb.14:
	s_or_b64 exec, exec, s[8:9]
	v_cmp_ne_u32_e32 vcc, v4, v5
	v_lshl_add_u32 v1, v5, 8, v0
	s_and_b64 s[8:9], vcc, exec
	s_or_saveexec_b64 s[6:7], s[6:7]
	v_mov_b32_e32 v2, s11
	s_xor_b64 exec, exec, s[6:7]
	s_cbranch_execz .LBB32_11
.LBB32_15:
	s_lshl_b32 s11, s41, 3
	v_mov_b32_e32 v2, s11
	s_or_b64 s[8:9], s[8:9], exec
	v_mov_b32_e32 v1, v0
	s_or_b64 exec, exec, s[6:7]
	s_and_b64 exec, exec, s[8:9]
	s_cbranch_execz .LBB32_18
.LBB32_16:
	v_lshl_add_u32 v2, v1, 2, v2
	v_mad_u64_u32 v[4:5], s[6:7], v1, s4, 0
	s_lshl_b64 s[4:5], s[4:5], 8
	s_lshl_b32 s8, s10, 2
	v_add3_u32 v2, v2, 0, 8
	s_mov_b64 s[6:7], 0
	v_mov_b32_e32 v3, 0
	v_mov_b32_e32 v6, s5
.LBB32_17:                              ; =>This Inner Loop Header: Depth=1
	v_add_co_u32_e32 v4, vcc, s4, v4
	v_add_u32_e32 v7, v1, v5
	v_add_u32_e32 v1, 0x100, v1
	v_addc_co_u32_e32 v5, vcc, v5, v6, vcc
	v_lshrrev_b32_e32 v7, s19, v7
	v_cmp_le_i32_e32 vcc, s53, v1
	v_mad_u64_u32 v[10:11], s[10:11], s8, v7, v[2:3]
	v_add_u32_e32 v2, 0x400, v2
	s_or_b64 s[6:7], vcc, s[6:7]
	ds_write_b32 v10, v3
	s_andn2_b64 exec, exec, s[6:7]
	s_cbranch_execnz .LBB32_17
.LBB32_18:
	s_or_b64 exec, exec, s[2:3]
	s_lshl_b32 s2, s52, 3
	s_add_i32 s54, s2, 0
	s_cmp_gt_i32 s40, 0
	s_mul_i32 s55, s48, s33
	s_mov_b32 s5, 0
	s_cselect_b64 s[10:11], -1, 0
	s_cmp_lt_i32 s40, 1
	v_cmp_gt_i32_e32 vcc, s55, v0
	s_waitcnt lgkmcnt(0)
	s_barrier
	s_cbranch_scc1 .LBB32_26
; %bb.19:
	s_mov_b32 s4, s49
	v_mad_u64_u32 v[2:3], s[2:3], v0, s49, 0
	s_lshl_b64 s[6:7], s[4:5], 8
	v_mov_b32_e32 v5, 0
	s_mov_b32 s4, 0
	s_branch .LBB32_21
.LBB32_20:                              ;   in Loop: Header=BB32_21 Depth=1
	s_or_b64 exec, exec, s[8:9]
	s_add_i32 s4, s4, s33
	s_add_i32 s5, s5, s55
	s_cmp_ge_i32 s4, s40
	s_barrier
	s_cbranch_scc1 .LBB32_26
.LBB32_21:                              ; =>This Loop Header: Depth=1
                                        ;     Child Loop BB32_24 Depth 2
	s_and_saveexec_b64 s[8:9], vcc
	s_cbranch_execz .LBB32_20
; %bb.22:                               ;   in Loop: Header=BB32_21 Depth=1
	s_mov_b64 s[12:13], 0
	v_pk_mov_b32 v[6:7], v[2:3], v[2:3] op_sel:[0,1]
	v_mov_b32_e32 v1, v0
	s_branch .LBB32_24
.LBB32_23:                              ;   in Loop: Header=BB32_24 Depth=2
	s_or_b64 exec, exec, s[14:15]
	v_add_u32_e32 v1, 0x100, v1
	v_cmp_le_i32_e64 s[2:3], s55, v1
	v_mov_b32_e32 v4, s7
	s_or_b64 s[12:13], s[2:3], s[12:13]
	v_add_co_u32_e64 v6, s[2:3], s6, v6
	v_addc_co_u32_e64 v7, s[2:3], v7, v4, s[2:3]
	s_waitcnt lgkmcnt(0)
	s_andn2_b64 exec, exec, s[12:13]
	s_cbranch_execz .LBB32_20
.LBB32_24:                              ;   Parent Loop BB32_21 Depth=1
                                        ; =>  This Inner Loop Header: Depth=2
	v_add_u32_e32 v4, v1, v7
	v_lshrrev_b32_e32 v9, s50, v4
	v_add_u32_e32 v4, s4, v9
	v_cmp_gt_i32_e64 s[2:3], s40, v4
	s_and_saveexec_b64 s[14:15], s[2:3]
	s_cbranch_execz .LBB32_23
; %bb.25:                               ;   in Loop: Header=BB32_24 Depth=2
	v_add_u32_e32 v4, s5, v1
	v_lshlrev_b64 v[10:11], 2, v[4:5]
	v_mov_b32_e32 v4, s29
	v_add_co_u32_e64 v10, s[2:3], s28, v10
	v_addc_co_u32_e64 v11, s[2:3], v4, v11, s[2:3]
	global_load_dword v4, v[10:11], off
	v_mul_lo_u32 v9, v9, s52
	v_lshlrev_b32_e32 v9, 2, v9
	s_waitcnt vmcnt(0)
	v_lshlrev_b32_e32 v4, 2, v4
	v_add3_u32 v4, s54, v4, v9
	ds_read_b32 v9, v4
	s_waitcnt lgkmcnt(0)
	v_add_u32_e32 v9, 1, v9
	ds_write_b32 v4, v9
	s_branch .LBB32_23
.LBB32_26:
	v_cmp_eq_u32_e32 vcc, 0, v0
	s_and_saveexec_b64 s[2:3], vcc
	s_cbranch_execz .LBB32_28
; %bb.27:
	v_mov_b32_e32 v1, 0
	ds_write_b32 v1, v1
.LBB32_28:
	s_or_b64 exec, exec, s[2:3]
	v_mbcnt_lo_u32_b32 v1, -1, 0
	v_and_b32_e32 v15, 7, v0
	v_mbcnt_hi_u32_b32 v11, -1, v1
	v_lshrrev_b32_e32 v14, 3, v0
	v_mul_lo_u32 v1, s52, v15
	v_cmp_gt_i32_e64 s[2:3], s41, v14
	v_lshlrev_b32_e32 v9, 2, v1
	v_lshlrev_b32_e32 v10, 2, v14
	s_and_saveexec_b64 s[8:9], s[2:3]
	s_cbranch_execz .LBB32_36
; %bb.29:
	s_cmp_gt_i32 s44, 2
	s_cselect_b64 s[6:7], -1, 0
	s_lshl_b32 s12, s41, 3
	v_lshlrev_b32_e32 v3, 2, v11
	v_add3_u32 v4, v9, s12, v10
	s_lshl_b32 s17, s41, 5
	v_cndmask_b32_e64 v5, 0, 1, s[6:7]
	v_xor_b32_e32 v1, 4, v3
	v_xor_b32_e32 v2, 8, v3
	;; [unrolled: 1-line block ×3, first 2 shown]
	v_cmp_eq_u32_e64 s[4:5], 0, v15
	v_add3_u32 v4, v4, 0, 8
	s_add_i32 s17, s17, 32
	s_mov_b64 s[12:13], 0
	v_cmp_ne_u32_e64 s[6:7], 1, v5
	v_mov_b32_e32 v5, v14
	s_branch .LBB32_31
.LBB32_30:                              ;   in Loop: Header=BB32_31 Depth=1
	s_or_b64 exec, exec, s[14:15]
	v_add_u32_e32 v5, 32, v5
	v_cmp_le_i32_e32 vcc, s41, v5
	s_or_b64 s[12:13], vcc, s[12:13]
	v_add_u32_e32 v4, 0x80, v4
	s_andn2_b64 exec, exec, s[12:13]
	s_cbranch_execz .LBB32_36
.LBB32_31:                              ; =>This Loop Header: Depth=1
                                        ;     Child Loop BB32_33 Depth 2
	s_and_b64 vcc, exec, s[6:7]
	v_mov_b32_e32 v6, 0
	s_cbranch_vccnz .LBB32_34
; %bb.32:                               ;   in Loop: Header=BB32_31 Depth=1
	s_mov_b32 s14, 0
	v_mov_b32_e32 v6, 0
	v_mov_b32_e32 v7, v4
.LBB32_33:                              ;   Parent Loop BB32_31 Depth=1
                                        ; =>  This Inner Loop Header: Depth=2
	ds_read_b32 v12, v7
	s_add_i32 s14, s14, 8
	v_add_u32_e32 v7, s17, v7
	s_cmp_ge_i32 s14, s33
	s_waitcnt lgkmcnt(0)
	ds_bpermute_b32 v13, v1, v12
	s_waitcnt lgkmcnt(0)
	v_add_u32_e32 v12, v13, v12
	ds_bpermute_b32 v13, v2, v12
	s_waitcnt lgkmcnt(0)
	v_add_u32_e32 v12, v13, v12
	ds_bpermute_b32 v13, v3, v12
	s_waitcnt lgkmcnt(0)
	v_add3_u32 v6, v12, v6, v13
	s_cbranch_scc0 .LBB32_33
.LBB32_34:                              ;   in Loop: Header=BB32_31 Depth=1
	s_and_saveexec_b64 s[14:15], s[4:5]
	s_cbranch_execz .LBB32_30
; %bb.35:                               ;   in Loop: Header=BB32_31 Depth=1
	v_lshl_add_u32 v7, v5, 2, 0
	ds_write_b32 v7, v6 offset:4
	s_branch .LBB32_30
.LBB32_36:
	s_or_b64 exec, exec, s[8:9]
	s_cmp_lg_u32 s16, 0
	s_mov_b32 s14, 0
	s_waitcnt lgkmcnt(0)
	s_barrier
	s_cbranch_scc1 .LBB32_45
; %bb.37:
	s_cmp_lt_i32 s41, 1
	v_mov_b32_e32 v2, 0
	s_cbranch_scc1 .LBB32_42
; %bb.38:
	v_lshlrev_b32_e32 v2, 2, v11
	v_and_b32_e32 v3, 0xc0, v2
	v_cmp_eq_u32_e32 vcc, 0, v11
	s_add_i32 s15, s45, -1
	v_add_u32_e32 v1, -4, v3
	v_cmp_lt_u32_e64 s[4:5], 15, v11
	v_add_u32_e32 v3, 0xffffffbc, v3
	v_cmp_lt_u32_e64 s[6:7], 31, v11
	v_add3_u32 v4, v2, 0, 4
	s_branch .LBB32_40
.LBB32_39:                              ;   in Loop: Header=BB32_40 Depth=1
	s_or_b64 exec, exec, s[12:13]
	s_add_i32 s14, s14, 64
	s_cmp_lt_i32 s14, s41
	v_add_u32_e32 v4, 0x100, v4
	s_waitcnt lgkmcnt(0)
	s_cbranch_scc0 .LBB32_42
.LBB32_40:                              ; =>This Inner Loop Header: Depth=1
	ds_read_b32 v5, v4
	v_mov_b32_e32 v2, s14
	v_cndmask_b32_e32 v2, 0, v2, vcc
	v_lshl_add_u32 v2, v2, 2, 0
	ds_read_b32 v2, v2
	s_waitcnt lgkmcnt(1)
	v_add_u32_e32 v5, s15, v5
	v_mul_hi_u32 v6, v5, s46
	v_add_u32_e32 v5, v5, v6
	v_lshrrev_b32_e32 v5, s47, v5
	s_waitcnt lgkmcnt(0)
	v_mad_u64_u32 v[6:7], s[8:9], v5, s45, v[2:3]
	s_nop 1
	v_add_u32_dpp v2, v6, v6 row_shr:1 row_mask:0xf bank_mask:0xf bound_ctrl:1
	v_add_u32_e32 v6, s14, v11
	v_cmp_gt_i32_e64 s[8:9], s41, v6
	v_add_u32_dpp v2, v2, v2 row_shr:2 row_mask:0xf bank_mask:0xf bound_ctrl:1
	s_nop 1
	v_add_u32_dpp v2, v2, v2 row_shr:4 row_mask:0xf bank_mask:0xf bound_ctrl:1
	s_nop 1
	v_add_u32_dpp v2, v2, v2 row_shr:8 row_mask:0xf bank_mask:0xf bound_ctrl:1
	ds_bpermute_b32 v5, v1, v2
	s_waitcnt lgkmcnt(0)
	v_cndmask_b32_e64 v5, 0, v5, s[4:5]
	v_add_u32_e32 v2, v2, v5
	ds_bpermute_b32 v5, v3, v2
	s_waitcnt lgkmcnt(0)
	v_cndmask_b32_e64 v5, 0, v5, s[6:7]
	v_add_u32_e32 v2, v2, v5
	s_and_saveexec_b64 s[12:13], s[8:9]
	s_cbranch_execz .LBB32_39
; %bb.41:                               ;   in Loop: Header=BB32_40 Depth=1
	ds_write_b32 v4, v2
	s_branch .LBB32_39
.LBB32_42:
	v_add_u32_e32 v1, s14, v11
	v_subrev_u32_e32 v1, 63, v1
	v_cmp_eq_u32_e32 vcc, s41, v1
	s_and_saveexec_b64 s[4:5], vcc
	s_cbranch_execz .LBB32_44
; %bb.43:
	v_mov_b32_e32 v1, 0
	v_mov_b32_e32 v3, s40
	global_store_dwordx2 v1, v[2:3], s[26:27]
.LBB32_44:
	s_or_b64 exec, exec, s[4:5]
.LBB32_45:
	s_cmp_eq_u64 s[38:39], 0
	s_barrier
	s_cbranch_scc1 .LBB32_55
; %bb.46:
	s_mul_i32 s14, s48, s40
	v_cmp_gt_i32_e32 vcc, s14, v0
	s_and_saveexec_b64 s[6:7], vcc
	s_cbranch_execz .LBB32_54
; %bb.47:
	v_xad_u32 v1, v0, -1, s14
	s_movk_i32 s4, 0xff
	v_cmp_lt_u32_e32 vcc, s4, v1
	s_mov_b64 s[4:5], -1
	v_mov_b32_e32 v2, v0
	s_and_saveexec_b64 s[8:9], vcc
	s_cbranch_execz .LBB32_51
; %bb.48:
	v_lshrrev_b32_e32 v1, 8, v1
	v_add_u32_e32 v6, 1, v1
	v_and_b32_e32 v7, 0x1fffffe, v6
	v_add_u32_e32 v1, 0x100, v0
	s_mov_b64 s[12:13], 0
	v_mov_b32_e32 v12, s29
	v_mov_b32_e32 v13, s39
	;; [unrolled: 1-line block ×4, first 2 shown]
	v_pk_mov_b32 v[4:5], v[0:1], v[0:1] op_sel:[0,1]
.LBB32_49:                              ; =>This Inner Loop Header: Depth=1
	v_mov_b32_e32 v2, v4
	v_lshlrev_b64 v[18:19], 2, v[2:3]
	v_mov_b32_e32 v2, v5
	v_add_co_u32_e32 v20, vcc, s28, v18
	v_addc_co_u32_e32 v21, vcc, v12, v19, vcc
	v_lshlrev_b64 v[22:23], 2, v[2:3]
	v_add_co_u32_e32 v24, vcc, s28, v22
	v_addc_co_u32_e32 v25, vcc, v12, v23, vcc
	global_load_dword v1, v[20:21], off
	global_load_dword v2, v[24:25], off
	v_add_u32_e32 v16, -2, v16
	v_cmp_eq_u32_e32 vcc, 0, v16
	v_add_co_u32_e64 v18, s[4:5], s38, v18
	v_add_u32_e32 v4, 0x200, v4
	v_add_u32_e32 v5, 0x200, v5
	v_addc_co_u32_e64 v19, s[4:5], v13, v19, s[4:5]
	s_or_b64 s[12:13], vcc, s[12:13]
	v_add_co_u32_e32 v20, vcc, s38, v22
	v_addc_co_u32_e32 v21, vcc, v13, v23, vcc
	s_waitcnt vmcnt(1)
	global_store_dword v[18:19], v1, off
	s_waitcnt vmcnt(1)
	global_store_dword v[20:21], v2, off
	s_andn2_b64 exec, exec, s[12:13]
	s_cbranch_execnz .LBB32_49
; %bb.50:
	s_or_b64 exec, exec, s[12:13]
	v_cmp_ne_u32_e32 vcc, v6, v7
	v_lshl_add_u32 v2, v7, 8, v0
	s_orn2_b64 s[4:5], vcc, exec
.LBB32_51:
	s_or_b64 exec, exec, s[8:9]
	s_and_b64 exec, exec, s[4:5]
	s_cbranch_execz .LBB32_54
; %bb.52:
	v_mov_b32_e32 v3, 0
	v_lshlrev_b64 v[6:7], 2, v[2:3]
	v_mov_b32_e32 v1, s29
	v_add_co_u32_e32 v4, vcc, s28, v6
	v_addc_co_u32_e32 v5, vcc, v1, v7, vcc
	v_mov_b32_e32 v1, s39
	v_add_co_u32_e32 v6, vcc, s38, v6
	v_addc_co_u32_e32 v7, vcc, v1, v7, vcc
	s_mov_b64 s[4:5], 0
.LBB32_53:                              ; =>This Inner Loop Header: Depth=1
	global_load_dword v1, v[4:5], off
	v_add_co_u32_e32 v4, vcc, 0x400, v4
	v_add_u32_e32 v2, 0x100, v2
	v_addc_co_u32_e32 v5, vcc, 0, v5, vcc
	v_cmp_le_i32_e32 vcc, s14, v2
	s_or_b64 s[4:5], vcc, s[4:5]
	s_waitcnt vmcnt(0)
	global_store_dword v[6:7], v1, off
	v_add_co_u32_e32 v6, vcc, 0x400, v6
	v_addc_co_u32_e32 v7, vcc, 0, v7, vcc
	s_andn2_b64 exec, exec, s[4:5]
	s_cbranch_execnz .LBB32_53
.LBB32_54:
	s_or_b64 exec, exec, s[6:7]
	s_barrier
.LBB32_55:
	s_lshl_b32 s16, s41, 2
	s_add_i32 s17, s16, 0
	s_add_i32 s44, s17, 4
	v_cmp_gt_i32_e64 s[4:5], s41, v0
	s_and_saveexec_b64 s[6:7], s[4:5]
	s_cbranch_execz .LBB32_61
; %bb.56:
	s_mov_b64 s[8:9], 0
	v_mov_b32_e32 v3, 0
	v_mov_b32_e32 v1, v0
	s_branch .LBB32_58
.LBB32_57:                              ;   in Loop: Header=BB32_58 Depth=1
	s_or_b64 exec, exec, s[12:13]
	v_add_u32_e32 v1, 0x100, v1
	v_cmp_le_i32_e32 vcc, s41, v1
	s_or_b64 s[8:9], vcc, s[8:9]
	s_andn2_b64 exec, exec, s[8:9]
	s_cbranch_execz .LBB32_61
.LBB32_58:                              ; =>This Loop Header: Depth=1
                                        ;     Child Loop BB32_60 Depth 2
	v_lshlrev_b32_e32 v2, 2, v1
	v_add_u32_e32 v4, 0, v2
	ds_read2_b32 v[4:5], v4 offset1:1
	v_add_u32_e32 v2, s44, v2
	s_waitcnt lgkmcnt(0)
	v_cmp_lt_i32_e32 vcc, v4, v5
	ds_write_b32 v2, v4
	s_and_saveexec_b64 s[12:13], vcc
	s_cbranch_execz .LBB32_57
; %bb.59:                               ;   in Loop: Header=BB32_58 Depth=1
	s_mov_b64 s[14:15], 0
.LBB32_60:                              ;   Parent Loop BB32_58 Depth=1
                                        ; =>  This Inner Loop Header: Depth=2
	v_mul_hi_u32 v2, s46, v4
	v_add_u32_e32 v2, v4, v2
	v_add_u32_e32 v4, s45, v4
	v_lshrrev_b32_e32 v2, s47, v2
	v_cmp_ge_i32_e32 vcc, v4, v5
	v_lshlrev_b64 v[6:7], 2, v[2:3]
	v_mov_b32_e32 v12, s25
	s_or_b64 s[14:15], vcc, s[14:15]
	v_add_co_u32_e32 v6, vcc, s24, v6
	v_addc_co_u32_e32 v7, vcc, v12, v7, vcc
	global_store_dword v[6:7], v1, off
	s_andn2_b64 exec, exec, s[14:15]
	s_cbranch_execnz .LBB32_60
	s_branch .LBB32_57
.LBB32_61:
	s_or_b64 exec, exec, s[6:7]
	v_mov_b32_e32 v1, s17
	s_waitcnt lgkmcnt(0)
	s_barrier
	ds_read_b32 v1, v1
	s_add_i32 s6, s17, s16
	v_mov_b32_e32 v2, s6
	s_andn2_b64 vcc, exec, s[10:11]
	s_waitcnt lgkmcnt(0)
	ds_write_b32 v2, v1 offset:4
	s_cbranch_vccnz .LBB32_88
; %bb.62:
	s_mov_b32 s24, s18
	s_sub_i32 s18, s52, s51
	s_add_u32 s51, s20, -4
	s_addc_u32 s56, s21, -1
	v_and_b32_e32 v1, 8, v11
	s_add_u32 s57, s30, -4
	v_cmp_eq_u32_e64 s[8:9], 0, v1
	v_lshrrev_b32_e32 v1, 8, v8
	s_addc_u32 s58, s31, -1
	v_add_u32_e32 v3, 1, v1
	s_add_u32 s59, s22, -4
	s_mov_b32 s25, 0
	s_movk_i32 s10, 0xff
	v_and_b32_e32 v18, 0x1fffffe, v3
	s_addc_u32 s60, s23, -1
	s_lshl_b32 s34, s41, 3
	s_mov_b32 s14, s49
	s_mov_b32 s15, s25
	v_lshlrev_b32_e32 v16, 2, v0
	v_cmp_lt_u32_e64 s[10:11], s10, v8
	v_lshl_add_u32 v2, v18, 8, v0
	v_cmp_ne_u32_e64 s[12:13], v3, v18
	s_add_i32 s16, s34, 0
	v_mov_b32_e32 v3, 0
	v_add3_u32 v8, v9, s34, v10
	s_lshl_b32 s63, s41, 5
	v_cmp_gt_i32_e32 vcc, s55, v0
	v_cmp_gt_i32_e64 s[6:7], s33, v15
	v_or_b32_e32 v17, 28, v16
	v_add_u32_e32 v1, 0x100, v0
	s_mov_b32 s45, s24
	s_mov_b32 s46, s19
	;; [unrolled: 1-line block ×3, first 2 shown]
	v_add_u32_e32 v19, s16, v16
	s_lshl_b32 s61, s18, 2
	s_lshl_b64 s[26:27], s[24:25], 8
	s_sub_i32 s62, 0, s48
	v_mov_b32_e32 v4, v0
	v_mov_b32_e32 v5, v3
	v_mad_u64_u32 v[6:7], s[16:17], v0, s49, 0
	s_lshl_b64 s[30:31], s[14:15], 8
	v_mul_lo_u32 v20, s48, v15
	s_lshl_b32 s49, s48, 3
	v_add3_u32 v21, v8, 0, 8
	s_add_i32 s63, s63, 32
	v_lshlrev_b32_e32 v22, 2, v2
	s_mov_b32 s64, 0x4020100
	s_mov_b32 s65, s25
	s_branch .LBB32_64
.LBB32_63:                              ;   in Loop: Header=BB32_64 Depth=1
	s_or_b64 exec, exec, s[34:35]
	s_add_i32 s65, s65, s33
	s_add_i32 s25, s25, s55
	s_cmp_ge_i32 s65, s40
	v_add_u32_e32 v20, s55, v20
	s_waitcnt lgkmcnt(0)
	s_barrier
	s_cbranch_scc1 .LBB32_88
.LBB32_64:                              ; =>This Loop Header: Depth=1
                                        ;     Child Loop BB32_67 Depth 2
                                        ;     Child Loop BB32_73 Depth 2
	;; [unrolled: 1-line block ×4, first 2 shown]
                                        ;       Child Loop BB32_86 Depth 3
	s_and_saveexec_b64 s[16:17], s[0:1]
	s_cbranch_execz .LBB32_74
; %bb.65:                               ;   in Loop: Header=BB32_64 Depth=1
	s_mov_b64 s[14:15], -1
	v_mov_b32_e32 v23, v0
	v_mov_b32_e32 v8, v16
	v_pk_mov_b32 v[12:13], v[4:5], v[4:5] op_sel:[0,1]
	s_and_saveexec_b64 s[34:35], s[10:11]
	s_cbranch_execz .LBB32_71
; %bb.66:                               ;   in Loop: Header=BB32_64 Depth=1
	s_mov_b64 s[36:37], 0
	v_mov_b32_e32 v10, v18
	v_mov_b32_e32 v11, v19
	v_pk_mov_b32 v[8:9], v[0:1], v[0:1] op_sel:[0,1]
.LBB32_67:                              ;   Parent Loop BB32_64 Depth=1
                                        ; =>  This Inner Loop Header: Depth=2
	v_mul_hi_u32 v12, s24, v8
	v_mul_hi_u32 v13, s45, v9
	v_add_u32_e32 v13, v9, v13
	v_add_u32_e32 v12, v8, v12
	v_add_u32_e32 v10, -2, v10
	v_lshrrev_b32_e32 v12, s46, v12
	v_lshrrev_b32_e32 v13, s19, v13
	v_cmp_eq_u32_e64 s[14:15], 0, v10
	v_mul_lo_u32 v13, v13, s47
	v_mul_lo_u32 v12, v12, s18
	v_add_u32_e32 v9, 0x200, v9
	v_add_u32_e32 v8, 0x200, v8
	s_or_b64 s[36:37], s[14:15], s[36:37]
	v_lshl_add_u32 v12, v12, 2, v11
	v_lshl_add_u32 v13, v13, 2, v11
	v_add_u32_e32 v11, 0x800, v11
	ds_write_b32 v12, v3 offset:8
	ds_write_b32 v13, v3 offset:1032
	s_andn2_b64 exec, exec, s[36:37]
	s_cbranch_execnz .LBB32_67
; %bb.68:                               ;   in Loop: Header=BB32_64 Depth=1
	s_or_b64 exec, exec, s[36:37]
	s_mov_b64 s[14:15], 0
                                        ; implicit-def: $vgpr12_vgpr13
	s_and_saveexec_b64 s[36:37], s[12:13]
	s_xor_b64 s[36:37], exec, s[36:37]
; %bb.69:                               ;   in Loop: Header=BB32_64 Depth=1
	s_mov_b64 s[14:15], exec
	v_pk_mov_b32 v[12:13], v[2:3], v[2:3] op_sel:[0,1]
; %bb.70:                               ;   in Loop: Header=BB32_64 Depth=1
	s_or_b64 exec, exec, s[36:37]
	s_orn2_b64 s[14:15], s[14:15], exec
	v_mov_b32_e32 v23, v2
	v_mov_b32_e32 v8, v22
.LBB32_71:                              ;   in Loop: Header=BB32_64 Depth=1
	s_or_b64 exec, exec, s[34:35]
	s_and_b64 exec, exec, s[14:15]
	s_cbranch_execz .LBB32_74
; %bb.72:                               ;   in Loop: Header=BB32_64 Depth=1
	v_mad_u64_u32 v[10:11], s[14:15], s24, v12, 0
	v_mov_b32_e32 v12, v11
	v_mad_u64_u32 v[12:13], s[14:15], s24, v13, v[12:13]
	v_add_u32_e32 v8, s54, v8
	v_mov_b32_e32 v9, v12
	s_mov_b64 s[34:35], 0
.LBB32_73:                              ;   Parent Loop BB32_64 Depth=1
                                        ; =>  This Inner Loop Header: Depth=2
	v_mov_b32_e32 v12, s27
	v_add_co_u32_e64 v10, s[14:15], s26, v10
	v_add_u32_e32 v11, v23, v9
	v_add_u32_e32 v23, 0x100, v23
	v_addc_co_u32_e64 v9, s[14:15], v9, v12, s[14:15]
	v_lshrrev_b32_e32 v11, s19, v11
	v_cmp_le_i32_e64 s[14:15], s53, v23
	v_mad_u64_u32 v[12:13], s[36:37], s61, v11, v[8:9]
	v_add_u32_e32 v8, 0x400, v8
	s_or_b64 s[34:35], s[14:15], s[34:35]
	ds_write_b32 v12, v3
	s_andn2_b64 exec, exec, s[34:35]
	s_cbranch_execnz .LBB32_73
.LBB32_74:                              ;   in Loop: Header=BB32_64 Depth=1
	s_or_b64 exec, exec, s[16:17]
	s_waitcnt lgkmcnt(0)
	s_barrier
	s_and_saveexec_b64 s[16:17], vcc
	s_cbranch_execz .LBB32_79
; %bb.75:                               ;   in Loop: Header=BB32_64 Depth=1
	s_mov_b64 s[34:35], 0
	v_pk_mov_b32 v[8:9], v[6:7], v[6:7] op_sel:[0,1]
	v_mov_b32_e32 v10, v0
	s_branch .LBB32_77
.LBB32_76:                              ;   in Loop: Header=BB32_77 Depth=2
	s_or_b64 exec, exec, s[36:37]
	v_add_u32_e32 v10, 0x100, v10
	v_cmp_le_i32_e64 s[14:15], s55, v10
	v_mov_b32_e32 v11, s31
	s_or_b64 s[34:35], s[14:15], s[34:35]
	v_add_co_u32_e64 v8, s[14:15], s30, v8
	v_addc_co_u32_e64 v9, s[14:15], v9, v11, s[14:15]
	s_andn2_b64 exec, exec, s[34:35]
	s_cbranch_execz .LBB32_79
.LBB32_77:                              ;   Parent Loop BB32_64 Depth=1
                                        ; =>  This Inner Loop Header: Depth=2
	v_add_u32_e32 v11, v10, v9
	v_lshrrev_b32_e32 v11, s50, v11
	v_add_u32_e32 v12, s65, v11
	v_cmp_gt_i32_e64 s[14:15], s40, v12
	s_and_saveexec_b64 s[36:37], s[14:15]
	s_cbranch_execz .LBB32_76
; %bb.78:                               ;   in Loop: Header=BB32_77 Depth=2
	v_add_u32_e32 v12, s25, v10
	v_ashrrev_i32_e32 v13, 31, v12
	v_lshlrev_b64 v[12:13], 2, v[12:13]
	v_mov_b32_e32 v23, s29
	v_add_co_u32_e64 v12, s[14:15], s28, v12
	v_addc_co_u32_e64 v13, s[14:15], v23, v13, s[14:15]
	global_load_dword v12, v[12:13], off
	v_mul_lo_u32 v13, s62, v11
	v_mul_lo_u32 v11, v11, s52
	v_lshlrev_b32_e32 v11, 2, v11
	v_add3_u32 v13, v10, v13, 1
	s_waitcnt vmcnt(0)
	v_lshlrev_b32_e32 v12, 2, v12
	v_add3_u32 v11, s54, v12, v11
	ds_write_b32 v11, v13
	s_branch .LBB32_76
.LBB32_79:                              ;   in Loop: Header=BB32_64 Depth=1
	s_or_b64 exec, exec, s[16:17]
	s_waitcnt lgkmcnt(0)
	s_barrier
	s_and_saveexec_b64 s[34:35], s[2:3]
	s_cbranch_execz .LBB32_63
; %bb.80:                               ;   in Loop: Header=BB32_64 Depth=1
	s_mov_b64 s[36:37], 0
	v_mov_b32_e32 v8, v21
	v_mov_b32_e32 v9, v14
	s_branch .LBB32_83
.LBB32_81:                              ;   in Loop: Header=BB32_83 Depth=2
	s_or_b64 exec, exec, s[42:43]
.LBB32_82:                              ;   in Loop: Header=BB32_83 Depth=2
	s_or_b64 exec, exec, s[38:39]
	v_add_u32_e32 v9, 32, v9
	v_cmp_le_i32_e64 s[14:15], s41, v9
	s_or_b64 s[36:37], s[14:15], s[36:37]
	v_add_u32_e32 v8, 0x80, v8
	s_waitcnt lgkmcnt(0)
	ds_write_b32 v10, v11
	s_andn2_b64 exec, exec, s[36:37]
	s_cbranch_execz .LBB32_63
.LBB32_83:                              ;   Parent Loop BB32_64 Depth=1
                                        ; =>  This Loop Header: Depth=2
                                        ;       Child Loop BB32_86 Depth 3
	v_lshl_add_u32 v10, v9, 2, 0
	ds_read_b32 v11, v10
	s_and_saveexec_b64 s[38:39], s[6:7]
	s_cbranch_execz .LBB32_82
; %bb.84:                               ;   in Loop: Header=BB32_83 Depth=2
	s_mov_b64 s[42:43], 0
	v_mov_b32_e32 v12, v8
	v_mov_b32_e32 v13, v20
	v_mov_b32_e32 v23, v15
	s_branch .LBB32_86
.LBB32_85:                              ;   in Loop: Header=BB32_86 Depth=3
	s_or_b64 exec, exec, s[16:17]
	ds_bpermute_b32 v24, v17, v24
	v_add_u32_e32 v23, 8, v23
	v_cmp_le_i32_e64 s[14:15], s33, v23
	v_add_u32_e32 v13, s49, v13
	s_or_b64 s[42:43], s[14:15], s[42:43]
	s_waitcnt lgkmcnt(0)
	v_add_u32_e32 v11, v24, v11
	v_add_u32_e32 v12, s63, v12
	s_andn2_b64 exec, exec, s[42:43]
	s_cbranch_execz .LBB32_81
.LBB32_86:                              ;   Parent Loop BB32_64 Depth=1
                                        ;     Parent Loop BB32_83 Depth=2
                                        ; =>    This Inner Loop Header: Depth=3
	ds_read_b32 v25, v12
	s_waitcnt lgkmcnt(0)
	v_cmp_ne_u32_e64 s[14:15], 0, v25
	v_cndmask_b32_e64 v24, 0, 1, s[14:15]
	s_nop 1
	v_mov_b32_dpp v24, v24 row_shr:1 row_mask:0xf bank_mask:0xf bound_ctrl:1
	v_addc_co_u32_e64 v26, s[16:17], 0, v24, s[14:15]
	s_nop 1
	v_mov_b32_dpp v26, v26 row_shr:2 row_mask:0xf bank_mask:0xf bound_ctrl:1
	v_addc_co_u32_e64 v24, s[16:17], v26, v24, s[14:15]
	s_nop 1
	v_add_u32_dpp v24, v24, v24 row_shr:4 row_mask:0xf bank_mask:0xf bound_ctrl:1
	s_nop 1
	v_add_u32_dpp v24, v24, v24 row_shr:8 row_mask:0xf bank_mask:0xf bound_ctrl:1
	s_nop 1
	v_mov_b32_dpp v26, v24 row_newbcast:7 row_mask:0xf bank_mask:0xf bound_ctrl:1
	v_cndmask_b32_e64 v26, v26, 0, s[8:9]
	v_sub_u32_e32 v24, v24, v26
	s_and_saveexec_b64 s[16:17], s[14:15]
	s_cbranch_execz .LBB32_85
; %bb.87:                               ;   in Loop: Header=BB32_86 Depth=3
	v_add_u32_e32 v26, v13, v25
	v_ashrrev_i32_e32 v27, 31, v26
	v_lshlrev_b64 v[26:27], 2, v[26:27]
	v_mov_b32_e32 v28, s58
	v_add_co_u32_e64 v26, s[14:15], s57, v26
	v_addc_co_u32_e64 v27, s[14:15], v28, v27, s[14:15]
	global_load_dword v30, v[26:27], off
	v_add_u32_e32 v26, s65, v23
	v_perm_b32 v25, v25, v26, s64
	v_add_u32_e32 v26, v24, v11
	v_ashrrev_i32_e32 v27, 31, v26
	v_lshlrev_b64 v[26:27], 2, v[26:27]
	v_mov_b32_e32 v29, s56
	v_add_co_u32_e64 v28, s[14:15], s51, v26
	v_add_u32_e32 v25, 0xff000000, v25
	v_addc_co_u32_e64 v29, s[14:15], v29, v27, s[14:15]
	global_store_dword v[28:29], v25, off
	v_mov_b32_e32 v25, s60
	v_add_co_u32_e64 v26, s[14:15], s59, v26
	v_addc_co_u32_e64 v27, s[14:15], v25, v27, s[14:15]
	s_waitcnt vmcnt(1)
	global_store_dword v[26:27], v30, off
	s_branch .LBB32_85
.LBB32_88:
	s_and_saveexec_b64 s[0:1], s[4:5]
	s_cbranch_execz .LBB32_99
; %bb.89:
	s_and_b32 s0, s40, 0xffffff
	s_lshl_b32 s1, s48, 24
	s_or_b32 s4, s1, s0
	s_mov_b32 s5, s4
	s_add_i32 s44, s44, 4
	s_mov_b64 s[2:3], 0
	s_mov_b32 s8, 0
	v_mov_b32_e32 v1, 0
	s_branch .LBB32_91
.LBB32_90:                              ;   in Loop: Header=BB32_91 Depth=1
	s_or_b64 exec, exec, s[12:13]
	v_add_u32_e32 v0, 0x100, v0
	v_cmp_le_i32_e32 vcc, s41, v0
	s_or_b64 s[2:3], vcc, s[2:3]
	s_andn2_b64 exec, exec, s[2:3]
	s_cbranch_execz .LBB32_99
.LBB32_91:                              ; =>This Loop Header: Depth=1
                                        ;     Child Loop BB32_94 Depth 2
                                        ;     Child Loop BB32_98 Depth 2
	v_lshlrev_b32_e32 v2, 2, v0
	v_add_u32_e32 v3, 0, v2
	v_add_u32_e32 v4, s44, v2
	ds_read_b32 v2, v3
	ds_read_b32 v8, v4
	s_waitcnt lgkmcnt(0)
	v_cmp_gt_i32_e32 vcc, v8, v2
	s_and_saveexec_b64 s[12:13], vcc
	s_cbranch_execz .LBB32_90
; %bb.92:                               ;   in Loop: Header=BB32_91 Depth=1
	v_sub_u32_e32 v3, v8, v2
	v_cmp_lt_u32_e32 vcc, 15, v3
	s_mov_b64 s[6:7], -1
	s_and_saveexec_b64 s[0:1], vcc
	s_cbranch_execz .LBB32_96
; %bb.93:                               ;   in Loop: Header=BB32_91 Depth=1
	v_and_b32_e32 v6, -16, v3
	s_mov_b64 s[14:15], 0
	v_mov_b32_e32 v4, v2
	v_mov_b32_e32 v7, v6
.LBB32_94:                              ;   Parent Loop BB32_91 Depth=1
                                        ; =>  This Inner Loop Header: Depth=2
	v_ashrrev_i32_e32 v5, 31, v4
	v_lshlrev_b64 v[14:15], 2, v[4:5]
	v_mov_b32_e32 v5, s21
	v_add_co_u32_e32 v16, vcc, s20, v14
	v_addc_co_u32_e32 v17, vcc, v5, v15, vcc
	s_mov_b32 s6, s4
	s_mov_b32 s7, s5
	v_pk_mov_b32 v[12:13], s[6:7], s[6:7] op_sel:[0,1]
	v_mov_b32_e32 v5, s23
	v_add_co_u32_e32 v14, vcc, s22, v14
	v_pk_mov_b32 v[10:11], s[4:5], s[4:5] op_sel:[0,1]
	v_addc_co_u32_e32 v15, vcc, v5, v15, vcc
	s_mov_b32 s10, s8
	s_mov_b32 s11, s8
	v_add_u32_e32 v7, -16, v7
	global_store_dwordx4 v[16:17], v[10:13], off
	global_store_dwordx4 v[16:17], v[10:13], off offset:16
	global_store_dwordx4 v[16:17], v[10:13], off offset:32
	global_store_dwordx4 v[16:17], v[10:13], off offset:48
	s_mov_b32 s9, s8
	v_pk_mov_b32 v[12:13], s[10:11], s[10:11] op_sel:[0,1]
	v_cmp_eq_u32_e32 vcc, 0, v7
	v_pk_mov_b32 v[10:11], s[8:9], s[8:9] op_sel:[0,1]
	s_or_b64 s[14:15], vcc, s[14:15]
	v_add_u32_e32 v4, 16, v4
	global_store_dwordx4 v[14:15], v[10:13], off
	global_store_dwordx4 v[14:15], v[10:13], off offset:16
	global_store_dwordx4 v[14:15], v[10:13], off offset:32
	;; [unrolled: 1-line block ×3, first 2 shown]
	s_andn2_b64 exec, exec, s[14:15]
	s_cbranch_execnz .LBB32_94
; %bb.95:                               ;   in Loop: Header=BB32_91 Depth=1
	s_or_b64 exec, exec, s[14:15]
	v_cmp_ne_u32_e32 vcc, v3, v6
	v_add_u32_e32 v2, v2, v6
	s_orn2_b64 s[6:7], vcc, exec
.LBB32_96:                              ;   in Loop: Header=BB32_91 Depth=1
	s_or_b64 exec, exec, s[0:1]
	s_and_b64 exec, exec, s[6:7]
	s_cbranch_execz .LBB32_90
; %bb.97:                               ;   in Loop: Header=BB32_91 Depth=1
	v_ashrrev_i32_e32 v3, 31, v2
	v_lshlrev_b64 v[6:7], 2, v[2:3]
	v_mov_b32_e32 v3, s21
	v_add_co_u32_e32 v4, vcc, s20, v6
	v_addc_co_u32_e32 v5, vcc, v3, v7, vcc
	v_mov_b32_e32 v3, s23
	v_add_co_u32_e32 v6, vcc, s22, v6
	v_addc_co_u32_e32 v7, vcc, v3, v7, vcc
	s_mov_b64 s[6:7], 0
.LBB32_98:                              ;   Parent Loop BB32_91 Depth=1
                                        ; =>  This Inner Loop Header: Depth=2
	global_store_dword v[6:7], v1, off
	v_add_co_u32_e32 v6, vcc, 4, v6
	v_mov_b32_e32 v3, s4
	v_add_u32_e32 v2, 1, v2
	v_addc_co_u32_e32 v7, vcc, 0, v7, vcc
	global_store_dword v[4:5], v3, off
	v_cmp_ge_i32_e32 vcc, v2, v8
	v_add_co_u32_e64 v4, s[0:1], 4, v4
	s_or_b64 s[6:7], vcc, s[6:7]
	v_addc_co_u32_e64 v5, vcc, 0, v5, s[0:1]
	s_andn2_b64 exec, exec, s[6:7]
	s_cbranch_execnz .LBB32_98
	s_branch .LBB32_90
.LBB32_99:
	s_endpgm
	.section	.rodata,"a",@progbits
	.p2align	6, 0x0
	.amdhsa_kernel _ZN5aiter22opus_moe_sorting_entryINS_16MoeSortingKernelINS_19MoeSortingProblemExIifLi1ELb0ELb0ELb0ELb1ELi0EEEEENS4_5KargsEEEvT0_
		.amdhsa_group_segment_fixed_size 0
		.amdhsa_private_segment_fixed_size 0
		.amdhsa_kernarg_size 400
		.amdhsa_user_sgpr_count 6
		.amdhsa_user_sgpr_private_segment_buffer 1
		.amdhsa_user_sgpr_dispatch_ptr 0
		.amdhsa_user_sgpr_queue_ptr 0
		.amdhsa_user_sgpr_kernarg_segment_ptr 1
		.amdhsa_user_sgpr_dispatch_id 0
		.amdhsa_user_sgpr_flat_scratch_init 0
		.amdhsa_user_sgpr_kernarg_preload_length 0
		.amdhsa_user_sgpr_kernarg_preload_offset 0
		.amdhsa_user_sgpr_private_segment_size 0
		.amdhsa_uses_dynamic_stack 0
		.amdhsa_system_sgpr_private_segment_wavefront_offset 0
		.amdhsa_system_sgpr_workgroup_id_x 1
		.amdhsa_system_sgpr_workgroup_id_y 0
		.amdhsa_system_sgpr_workgroup_id_z 0
		.amdhsa_system_sgpr_workgroup_info 0
		.amdhsa_system_vgpr_workitem_id 0
		.amdhsa_next_free_vgpr 31
		.amdhsa_next_free_sgpr 66
		.amdhsa_accum_offset 32
		.amdhsa_reserve_vcc 1
		.amdhsa_reserve_flat_scratch 0
		.amdhsa_float_round_mode_32 0
		.amdhsa_float_round_mode_16_64 0
		.amdhsa_float_denorm_mode_32 3
		.amdhsa_float_denorm_mode_16_64 3
		.amdhsa_dx10_clamp 1
		.amdhsa_ieee_mode 1
		.amdhsa_fp16_overflow 0
		.amdhsa_tg_split 0
		.amdhsa_exception_fp_ieee_invalid_op 0
		.amdhsa_exception_fp_denorm_src 0
		.amdhsa_exception_fp_ieee_div_zero 0
		.amdhsa_exception_fp_ieee_overflow 0
		.amdhsa_exception_fp_ieee_underflow 0
		.amdhsa_exception_fp_ieee_inexact 0
		.amdhsa_exception_int_div_zero 0
	.end_amdhsa_kernel
	.section	.text._ZN5aiter22opus_moe_sorting_entryINS_16MoeSortingKernelINS_19MoeSortingProblemExIifLi1ELb0ELb0ELb0ELb1ELi0EEEEENS4_5KargsEEEvT0_,"axG",@progbits,_ZN5aiter22opus_moe_sorting_entryINS_16MoeSortingKernelINS_19MoeSortingProblemExIifLi1ELb0ELb0ELb0ELb1ELi0EEEEENS4_5KargsEEEvT0_,comdat
.Lfunc_end32:
	.size	_ZN5aiter22opus_moe_sorting_entryINS_16MoeSortingKernelINS_19MoeSortingProblemExIifLi1ELb0ELb0ELb0ELb1ELi0EEEEENS4_5KargsEEEvT0_, .Lfunc_end32-_ZN5aiter22opus_moe_sorting_entryINS_16MoeSortingKernelINS_19MoeSortingProblemExIifLi1ELb0ELb0ELb0ELb1ELi0EEEEENS4_5KargsEEEvT0_
                                        ; -- End function
	.section	.AMDGPU.csdata,"",@progbits
; Kernel info:
; codeLenInByte = 4196
; NumSgprs: 70
; NumVgprs: 31
; NumAgprs: 0
; TotalNumVgprs: 31
; ScratchSize: 0
; MemoryBound: 0
; FloatMode: 240
; IeeeMode: 1
; LDSByteSize: 0 bytes/workgroup (compile time only)
; SGPRBlocks: 8
; VGPRBlocks: 3
; NumSGPRsForWavesPerEU: 70
; NumVGPRsForWavesPerEU: 31
; AccumOffset: 32
; Occupancy: 8
; WaveLimiterHint : 1
; COMPUTE_PGM_RSRC2:SCRATCH_EN: 0
; COMPUTE_PGM_RSRC2:USER_SGPR: 6
; COMPUTE_PGM_RSRC2:TRAP_HANDLER: 0
; COMPUTE_PGM_RSRC2:TGID_X_EN: 1
; COMPUTE_PGM_RSRC2:TGID_Y_EN: 0
; COMPUTE_PGM_RSRC2:TGID_Z_EN: 0
; COMPUTE_PGM_RSRC2:TIDIG_COMP_CNT: 0
; COMPUTE_PGM_RSRC3_GFX90A:ACCUM_OFFSET: 7
; COMPUTE_PGM_RSRC3_GFX90A:TG_SPLIT: 0
	.section	.text._ZN5aiter22opus_moe_sorting_entryINS_30MoeSortingClearWorkspaceKernelINS_31MoeSortingClearWorkspaceProblemILb1ELi1024ELi1EEEEENS4_5KargsEEEvT0_,"axG",@progbits,_ZN5aiter22opus_moe_sorting_entryINS_30MoeSortingClearWorkspaceKernelINS_31MoeSortingClearWorkspaceProblemILb1ELi1024ELi1EEEEENS4_5KargsEEEvT0_,comdat
	.protected	_ZN5aiter22opus_moe_sorting_entryINS_30MoeSortingClearWorkspaceKernelINS_31MoeSortingClearWorkspaceProblemILb1ELi1024ELi1EEEEENS4_5KargsEEEvT0_ ; -- Begin function _ZN5aiter22opus_moe_sorting_entryINS_30MoeSortingClearWorkspaceKernelINS_31MoeSortingClearWorkspaceProblemILb1ELi1024ELi1EEEEENS4_5KargsEEEvT0_
	.globl	_ZN5aiter22opus_moe_sorting_entryINS_30MoeSortingClearWorkspaceKernelINS_31MoeSortingClearWorkspaceProblemILb1ELi1024ELi1EEEEENS4_5KargsEEEvT0_
	.p2align	8
	.type	_ZN5aiter22opus_moe_sorting_entryINS_30MoeSortingClearWorkspaceKernelINS_31MoeSortingClearWorkspaceProblemILb1ELi1024ELi1EEEEENS4_5KargsEEEvT0_,@function
_ZN5aiter22opus_moe_sorting_entryINS_30MoeSortingClearWorkspaceKernelINS_31MoeSortingClearWorkspaceProblemILb1ELi1024ELi1EEEEENS4_5KargsEEEvT0_: ; @_ZN5aiter22opus_moe_sorting_entryINS_30MoeSortingClearWorkspaceKernelINS_31MoeSortingClearWorkspaceProblemILb1ELi1024ELi1EEEEENS4_5KargsEEEvT0_
; %bb.0:
	s_load_dwordx4 s[0:3], s[4:5], 0x0
	s_load_dword s7, s[4:5], 0x14
	s_load_dword s8, s[4:5], 0x1c
	v_lshl_or_b32 v4, s6, 10, v0
	s_waitcnt lgkmcnt(0)
	s_load_dword s0, s[0:1], 0x0
	s_mul_i32 s1, s7, s8
	s_waitcnt lgkmcnt(0)
	s_add_i32 s0, s0, 31
	s_ashr_i32 s7, s0, 31
	s_lshr_b32 s7, s7, 27
	s_add_i32 s0, s0, s7
	s_lshr_b32 s0, s0, 5
	s_mul_i32 s1, s1, s0
	s_lshl_b32 s0, s1, 5
	s_ashr_i32 s7, s0, 4
	v_cmp_gt_i32_e32 vcc, s7, v4
	s_and_saveexec_b64 s[0:1], vcc
	s_cbranch_execz .LBB33_3
; %bb.1:
	s_load_dword s4, s[4:5], 0x20
	v_mov_b32_e32 v0, 0
	s_mov_b64 s[0:1], 0
	v_mov_b32_e32 v6, s3
	v_mov_b32_e32 v1, v0
	s_waitcnt lgkmcnt(0)
	s_lshl_b32 s3, s4, 10
	v_mov_b32_e32 v2, v0
	v_mov_b32_e32 v3, v0
.LBB33_2:                               ; =>This Inner Loop Header: Depth=1
	v_ashrrev_i32_e32 v5, 31, v4
	v_lshlrev_b64 v[8:9], 4, v[4:5]
	v_add_co_u32_e32 v8, vcc, s2, v8
	v_addc_co_u32_e32 v9, vcc, v6, v9, vcc
	v_add_u32_e32 v4, s3, v4
	v_cmp_le_i32_e32 vcc, s7, v4
	s_or_b64 s[0:1], vcc, s[0:1]
	global_store_dwordx4 v[8:9], v[0:3], off
	s_andn2_b64 exec, exec, s[0:1]
	s_cbranch_execnz .LBB33_2
.LBB33_3:
	s_endpgm
	.section	.rodata,"a",@progbits
	.p2align	6, 0x0
	.amdhsa_kernel _ZN5aiter22opus_moe_sorting_entryINS_30MoeSortingClearWorkspaceKernelINS_31MoeSortingClearWorkspaceProblemILb1ELi1024ELi1EEEEENS4_5KargsEEEvT0_
		.amdhsa_group_segment_fixed_size 0
		.amdhsa_private_segment_fixed_size 0
		.amdhsa_kernarg_size 288
		.amdhsa_user_sgpr_count 6
		.amdhsa_user_sgpr_private_segment_buffer 1
		.amdhsa_user_sgpr_dispatch_ptr 0
		.amdhsa_user_sgpr_queue_ptr 0
		.amdhsa_user_sgpr_kernarg_segment_ptr 1
		.amdhsa_user_sgpr_dispatch_id 0
		.amdhsa_user_sgpr_flat_scratch_init 0
		.amdhsa_user_sgpr_kernarg_preload_length 0
		.amdhsa_user_sgpr_kernarg_preload_offset 0
		.amdhsa_user_sgpr_private_segment_size 0
		.amdhsa_uses_dynamic_stack 0
		.amdhsa_system_sgpr_private_segment_wavefront_offset 0
		.amdhsa_system_sgpr_workgroup_id_x 1
		.amdhsa_system_sgpr_workgroup_id_y 0
		.amdhsa_system_sgpr_workgroup_id_z 0
		.amdhsa_system_sgpr_workgroup_info 0
		.amdhsa_system_vgpr_workitem_id 0
		.amdhsa_next_free_vgpr 10
		.amdhsa_next_free_sgpr 9
		.amdhsa_accum_offset 12
		.amdhsa_reserve_vcc 1
		.amdhsa_reserve_flat_scratch 0
		.amdhsa_float_round_mode_32 0
		.amdhsa_float_round_mode_16_64 0
		.amdhsa_float_denorm_mode_32 3
		.amdhsa_float_denorm_mode_16_64 3
		.amdhsa_dx10_clamp 1
		.amdhsa_ieee_mode 1
		.amdhsa_fp16_overflow 0
		.amdhsa_tg_split 0
		.amdhsa_exception_fp_ieee_invalid_op 0
		.amdhsa_exception_fp_denorm_src 0
		.amdhsa_exception_fp_ieee_div_zero 0
		.amdhsa_exception_fp_ieee_overflow 0
		.amdhsa_exception_fp_ieee_underflow 0
		.amdhsa_exception_fp_ieee_inexact 0
		.amdhsa_exception_int_div_zero 0
	.end_amdhsa_kernel
	.section	.text._ZN5aiter22opus_moe_sorting_entryINS_30MoeSortingClearWorkspaceKernelINS_31MoeSortingClearWorkspaceProblemILb1ELi1024ELi1EEEEENS4_5KargsEEEvT0_,"axG",@progbits,_ZN5aiter22opus_moe_sorting_entryINS_30MoeSortingClearWorkspaceKernelINS_31MoeSortingClearWorkspaceProblemILb1ELi1024ELi1EEEEENS4_5KargsEEEvT0_,comdat
.Lfunc_end33:
	.size	_ZN5aiter22opus_moe_sorting_entryINS_30MoeSortingClearWorkspaceKernelINS_31MoeSortingClearWorkspaceProblemILb1ELi1024ELi1EEEEENS4_5KargsEEEvT0_, .Lfunc_end33-_ZN5aiter22opus_moe_sorting_entryINS_30MoeSortingClearWorkspaceKernelINS_31MoeSortingClearWorkspaceProblemILb1ELi1024ELi1EEEEENS4_5KargsEEEvT0_
                                        ; -- End function
	.section	.AMDGPU.csdata,"",@progbits
; Kernel info:
; codeLenInByte = 188
; NumSgprs: 13
; NumVgprs: 10
; NumAgprs: 0
; TotalNumVgprs: 10
; ScratchSize: 0
; MemoryBound: 0
; FloatMode: 240
; IeeeMode: 1
; LDSByteSize: 0 bytes/workgroup (compile time only)
; SGPRBlocks: 1
; VGPRBlocks: 1
; NumSGPRsForWavesPerEU: 13
; NumVGPRsForWavesPerEU: 10
; AccumOffset: 12
; Occupancy: 8
; WaveLimiterHint : 0
; COMPUTE_PGM_RSRC2:SCRATCH_EN: 0
; COMPUTE_PGM_RSRC2:USER_SGPR: 6
; COMPUTE_PGM_RSRC2:TRAP_HANDLER: 0
; COMPUTE_PGM_RSRC2:TGID_X_EN: 1
; COMPUTE_PGM_RSRC2:TGID_Y_EN: 0
; COMPUTE_PGM_RSRC2:TGID_Z_EN: 0
; COMPUTE_PGM_RSRC2:TIDIG_COMP_CNT: 0
; COMPUTE_PGM_RSRC3_GFX90A:ACCUM_OFFSET: 2
; COMPUTE_PGM_RSRC3_GFX90A:TG_SPLIT: 0
	.section	.text._ZN5aiter22opus_moe_sorting_entryINS_30MoeSortingClearWorkspaceKernelINS_31MoeSortingClearWorkspaceProblemILb0ELi1024ELi1EEEEENS4_5KargsEEEvT0_,"axG",@progbits,_ZN5aiter22opus_moe_sorting_entryINS_30MoeSortingClearWorkspaceKernelINS_31MoeSortingClearWorkspaceProblemILb0ELi1024ELi1EEEEENS4_5KargsEEEvT0_,comdat
	.protected	_ZN5aiter22opus_moe_sorting_entryINS_30MoeSortingClearWorkspaceKernelINS_31MoeSortingClearWorkspaceProblemILb0ELi1024ELi1EEEEENS4_5KargsEEEvT0_ ; -- Begin function _ZN5aiter22opus_moe_sorting_entryINS_30MoeSortingClearWorkspaceKernelINS_31MoeSortingClearWorkspaceProblemILb0ELi1024ELi1EEEEENS4_5KargsEEEvT0_
	.globl	_ZN5aiter22opus_moe_sorting_entryINS_30MoeSortingClearWorkspaceKernelINS_31MoeSortingClearWorkspaceProblemILb0ELi1024ELi1EEEEENS4_5KargsEEEvT0_
	.p2align	8
	.type	_ZN5aiter22opus_moe_sorting_entryINS_30MoeSortingClearWorkspaceKernelINS_31MoeSortingClearWorkspaceProblemILb0ELi1024ELi1EEEEENS4_5KargsEEEvT0_,@function
_ZN5aiter22opus_moe_sorting_entryINS_30MoeSortingClearWorkspaceKernelINS_31MoeSortingClearWorkspaceProblemILb0ELi1024ELi1EEEEENS4_5KargsEEEvT0_: ; @_ZN5aiter22opus_moe_sorting_entryINS_30MoeSortingClearWorkspaceKernelINS_31MoeSortingClearWorkspaceProblemILb0ELi1024ELi1EEEEENS4_5KargsEEEvT0_
; %bb.0:
	s_load_dwordx4 s[0:3], s[4:5], 0x14
	v_lshl_or_b32 v4, s6, 10, v0
	s_waitcnt lgkmcnt(0)
	s_mul_i32 s0, s1, s0
	s_mul_i32 s0, s0, s2
	s_ashr_i32 s1, s0, 31
	s_lshr_b32 s1, s1, 28
	s_add_i32 s0, s0, s1
	s_ashr_i32 s7, s0, 4
	v_cmp_gt_i32_e32 vcc, s7, v4
	s_and_saveexec_b64 s[0:1], vcc
	s_cbranch_execz .LBB34_3
; %bb.1:
	s_load_dword s6, s[4:5], 0x20
	s_load_dwordx2 s[0:1], s[4:5], 0x8
	v_mov_b32_e32 v0, 0
	s_mov_b64 s[2:3], 0
	v_mov_b32_e32 v1, v0
	s_waitcnt lgkmcnt(0)
	s_lshl_b32 s4, s6, 10
	v_mov_b32_e32 v6, s1
	v_mov_b32_e32 v2, v0
	v_mov_b32_e32 v3, v0
.LBB34_2:                               ; =>This Inner Loop Header: Depth=1
	v_ashrrev_i32_e32 v5, 31, v4
	v_lshlrev_b64 v[8:9], 4, v[4:5]
	v_add_co_u32_e32 v8, vcc, s0, v8
	v_addc_co_u32_e32 v9, vcc, v6, v9, vcc
	v_add_u32_e32 v4, s4, v4
	v_cmp_le_i32_e32 vcc, s7, v4
	s_or_b64 s[2:3], vcc, s[2:3]
	global_store_dwordx4 v[8:9], v[0:3], off
	s_andn2_b64 exec, exec, s[2:3]
	s_cbranch_execnz .LBB34_2
.LBB34_3:
	s_endpgm
	.section	.rodata,"a",@progbits
	.p2align	6, 0x0
	.amdhsa_kernel _ZN5aiter22opus_moe_sorting_entryINS_30MoeSortingClearWorkspaceKernelINS_31MoeSortingClearWorkspaceProblemILb0ELi1024ELi1EEEEENS4_5KargsEEEvT0_
		.amdhsa_group_segment_fixed_size 0
		.amdhsa_private_segment_fixed_size 0
		.amdhsa_kernarg_size 288
		.amdhsa_user_sgpr_count 6
		.amdhsa_user_sgpr_private_segment_buffer 1
		.amdhsa_user_sgpr_dispatch_ptr 0
		.amdhsa_user_sgpr_queue_ptr 0
		.amdhsa_user_sgpr_kernarg_segment_ptr 1
		.amdhsa_user_sgpr_dispatch_id 0
		.amdhsa_user_sgpr_flat_scratch_init 0
		.amdhsa_user_sgpr_kernarg_preload_length 0
		.amdhsa_user_sgpr_kernarg_preload_offset 0
		.amdhsa_user_sgpr_private_segment_size 0
		.amdhsa_uses_dynamic_stack 0
		.amdhsa_system_sgpr_private_segment_wavefront_offset 0
		.amdhsa_system_sgpr_workgroup_id_x 1
		.amdhsa_system_sgpr_workgroup_id_y 0
		.amdhsa_system_sgpr_workgroup_id_z 0
		.amdhsa_system_sgpr_workgroup_info 0
		.amdhsa_system_vgpr_workitem_id 0
		.amdhsa_next_free_vgpr 10
		.amdhsa_next_free_sgpr 8
		.amdhsa_accum_offset 12
		.amdhsa_reserve_vcc 1
		.amdhsa_reserve_flat_scratch 0
		.amdhsa_float_round_mode_32 0
		.amdhsa_float_round_mode_16_64 0
		.amdhsa_float_denorm_mode_32 3
		.amdhsa_float_denorm_mode_16_64 3
		.amdhsa_dx10_clamp 1
		.amdhsa_ieee_mode 1
		.amdhsa_fp16_overflow 0
		.amdhsa_tg_split 0
		.amdhsa_exception_fp_ieee_invalid_op 0
		.amdhsa_exception_fp_denorm_src 0
		.amdhsa_exception_fp_ieee_div_zero 0
		.amdhsa_exception_fp_ieee_overflow 0
		.amdhsa_exception_fp_ieee_underflow 0
		.amdhsa_exception_fp_ieee_inexact 0
		.amdhsa_exception_int_div_zero 0
	.end_amdhsa_kernel
	.section	.text._ZN5aiter22opus_moe_sorting_entryINS_30MoeSortingClearWorkspaceKernelINS_31MoeSortingClearWorkspaceProblemILb0ELi1024ELi1EEEEENS4_5KargsEEEvT0_,"axG",@progbits,_ZN5aiter22opus_moe_sorting_entryINS_30MoeSortingClearWorkspaceKernelINS_31MoeSortingClearWorkspaceProblemILb0ELi1024ELi1EEEEENS4_5KargsEEEvT0_,comdat
.Lfunc_end34:
	.size	_ZN5aiter22opus_moe_sorting_entryINS_30MoeSortingClearWorkspaceKernelINS_31MoeSortingClearWorkspaceProblemILb0ELi1024ELi1EEEEENS4_5KargsEEEvT0_, .Lfunc_end34-_ZN5aiter22opus_moe_sorting_entryINS_30MoeSortingClearWorkspaceKernelINS_31MoeSortingClearWorkspaceProblemILb0ELi1024ELi1EEEEENS4_5KargsEEEvT0_
                                        ; -- End function
	.section	.AMDGPU.csdata,"",@progbits
; Kernel info:
; codeLenInByte = 156
; NumSgprs: 12
; NumVgprs: 10
; NumAgprs: 0
; TotalNumVgprs: 10
; ScratchSize: 0
; MemoryBound: 0
; FloatMode: 240
; IeeeMode: 1
; LDSByteSize: 0 bytes/workgroup (compile time only)
; SGPRBlocks: 1
; VGPRBlocks: 1
; NumSGPRsForWavesPerEU: 12
; NumVGPRsForWavesPerEU: 10
; AccumOffset: 12
; Occupancy: 8
; WaveLimiterHint : 0
; COMPUTE_PGM_RSRC2:SCRATCH_EN: 0
; COMPUTE_PGM_RSRC2:USER_SGPR: 6
; COMPUTE_PGM_RSRC2:TRAP_HANDLER: 0
; COMPUTE_PGM_RSRC2:TGID_X_EN: 1
; COMPUTE_PGM_RSRC2:TGID_Y_EN: 0
; COMPUTE_PGM_RSRC2:TGID_Z_EN: 0
; COMPUTE_PGM_RSRC2:TIDIG_COMP_CNT: 0
; COMPUTE_PGM_RSRC3_GFX90A:ACCUM_OFFSET: 2
; COMPUTE_PGM_RSRC3_GFX90A:TG_SPLIT: 0
	.section	.text._ZN5aiter22opus_moe_sorting_entryINS_32MoeSortingMultiPhaseKernel_P0_v2INS_19MoeSortingProblemMpIifhLi4ELb1ELb1ELb1EEEEENS4_5KargsEEEvT0_,"axG",@progbits,_ZN5aiter22opus_moe_sorting_entryINS_32MoeSortingMultiPhaseKernel_P0_v2INS_19MoeSortingProblemMpIifhLi4ELb1ELb1ELb1EEEEENS4_5KargsEEEvT0_,comdat
	.protected	_ZN5aiter22opus_moe_sorting_entryINS_32MoeSortingMultiPhaseKernel_P0_v2INS_19MoeSortingProblemMpIifhLi4ELb1ELb1ELb1EEEEENS4_5KargsEEEvT0_ ; -- Begin function _ZN5aiter22opus_moe_sorting_entryINS_32MoeSortingMultiPhaseKernel_P0_v2INS_19MoeSortingProblemMpIifhLi4ELb1ELb1ELb1EEEEENS4_5KargsEEEvT0_
	.globl	_ZN5aiter22opus_moe_sorting_entryINS_32MoeSortingMultiPhaseKernel_P0_v2INS_19MoeSortingProblemMpIifhLi4ELb1ELb1ELb1EEEEENS4_5KargsEEEvT0_
	.p2align	8
	.type	_ZN5aiter22opus_moe_sorting_entryINS_32MoeSortingMultiPhaseKernel_P0_v2INS_19MoeSortingProblemMpIifhLi4ELb1ELb1ELb1EEEEENS4_5KargsEEEvT0_,@function
_ZN5aiter22opus_moe_sorting_entryINS_32MoeSortingMultiPhaseKernel_P0_v2INS_19MoeSortingProblemMpIifhLi4ELb1ELb1ELb1EEEEENS4_5KargsEEEvT0_: ; @_ZN5aiter22opus_moe_sorting_entryINS_32MoeSortingMultiPhaseKernel_P0_v2INS_19MoeSortingProblemMpIifhLi4ELb1ELb1ELb1EEEEENS4_5KargsEEEvT0_
; %bb.0:
	s_load_dwordx4 s[16:19], s[4:5], 0x0
	s_load_dwordx2 s[20:21], s[4:5], 0x10
	s_ashr_i32 s7, s6, 31
	s_lshl_b64 s[2:3], s[6:7], 2
	s_waitcnt lgkmcnt(0)
	s_load_dword s28, s[18:19], 0x0
	s_load_dwordx8 s[8:15], s[4:5], 0x20
	s_waitcnt lgkmcnt(0)
	s_add_i32 s29, s28, 31
	s_ashr_i32 s0, s29, 31
	s_lshr_b32 s0, s0, 27
	s_add_i32 s29, s29, s0
	s_and_b32 s22, s29, 0xffffffe0
	s_add_u32 s0, s12, s2
	s_addc_u32 s1, s13, s3
	s_load_dword s30, s[0:1], 0x0
	s_mul_i32 s7, s22, s6
	s_ashr_i32 s11, s7, 31
	s_add_u32 s4, s20, s7
	s_addc_u32 s5, s21, s11
	v_cmp_gt_i32_e32 vcc, s22, v0
	s_and_saveexec_b64 s[12:13], vcc
	s_cbranch_execz .LBB35_8
; %bb.1:
	v_xad_u32 v1, v0, -1, s22
	s_movk_i32 s0, 0xdff
	v_cmp_lt_u32_e32 vcc, s0, v1
	s_mov_b64 s[18:19], -1
	v_mov_b32_e32 v2, v0
	s_and_saveexec_b64 s[0:1], vcc
	s_cbranch_execz .LBB35_5
; %bb.2:
	v_lshrrev_b32_e32 v1, 9, v1
	v_add_u32_e32 v10, 1, v1
	v_add_u32_e32 v7, 0xe00, v0
	v_or_b32_e32 v6, 0xc00, v0
	v_add_u32_e32 v5, 0xa00, v0
	v_or_b32_e32 v4, 0x800, v0
	;; [unrolled: 2-line block ×3, first 2 shown]
	v_and_b32_e32 v11, 0xfffff8, v10
	v_add_u32_e32 v1, 0x200, v0
	v_pk_mov_b32 v[8:9], v[6:7], v[6:7] op_sel:[0,1]
	s_mov_b64 s[18:19], 0
	v_mov_b32_e32 v12, s5
	v_mov_b32_e32 v13, 0
	;; [unrolled: 1-line block ×3, first 2 shown]
	v_pk_mov_b32 v[6:7], v[4:5], v[4:5] op_sel:[0,1]
	v_pk_mov_b32 v[4:5], v[2:3], v[2:3] op_sel:[0,1]
	;; [unrolled: 1-line block ×3, first 2 shown]
.LBB35_3:                               ; =>This Inner Loop Header: Depth=1
	v_add_co_u32_e32 v16, vcc, s4, v2
	v_addc_co_u32_e32 v17, vcc, 0, v12, vcc
	v_add_co_u32_e32 v18, vcc, s4, v3
	v_addc_co_u32_e32 v19, vcc, 0, v12, vcc
	;; [unrolled: 2-line block ×8, first 2 shown]
	v_add_u32_e32 v14, -8, v14
	v_cmp_eq_u32_e32 vcc, 0, v14
	v_add_u32_e32 v9, 0x1000, v9
	v_add_u32_e32 v8, 0x1000, v8
	;; [unrolled: 1-line block ×8, first 2 shown]
	s_or_b64 s[18:19], vcc, s[18:19]
	global_store_byte v[16:17], v13, off
	global_store_byte v[18:19], v13, off
	;; [unrolled: 1-line block ×8, first 2 shown]
	s_andn2_b64 exec, exec, s[18:19]
	s_cbranch_execnz .LBB35_3
; %bb.4:
	s_or_b64 exec, exec, s[18:19]
	v_cmp_ne_u32_e32 vcc, v10, v11
	v_lshl_or_b32 v2, v11, 9, v0
	s_orn2_b64 s[18:19], vcc, exec
.LBB35_5:
	s_or_b64 exec, exec, s[0:1]
	s_and_b64 exec, exec, s[18:19]
	s_cbranch_execz .LBB35_8
; %bb.6:
	v_mov_b32_e32 v3, 0
	s_mov_b64 s[18:19], 0
	v_mov_b32_e32 v1, s5
	v_pk_mov_b32 v[4:5], v[2:3], v[2:3] op_sel:[0,1]
.LBB35_7:                               ; =>This Inner Loop Header: Depth=1
	v_add_co_u32_e32 v6, vcc, s4, v4
	v_addc_co_u32_e32 v7, vcc, v1, v5, vcc
	v_add_co_u32_e32 v4, vcc, 0x200, v4
	v_cmp_le_i32_e64 s[0:1], s22, v4
	s_or_b64 s[18:19], s[0:1], s[18:19]
	v_addc_co_u32_e32 v5, vcc, 0, v5, vcc
	global_store_byte v[6:7], v3, off
	s_andn2_b64 exec, exec, s[18:19]
	s_cbranch_execnz .LBB35_7
.LBB35_8:
	s_or_b64 exec, exec, s[12:13]
	s_add_i32 s0, s28, 3
	s_ashr_i32 s1, s0, 31
	s_lshr_b32 s1, s1, 30
	s_add_i32 s0, s0, s1
	s_lshr_b32 s0, s0, 2
	s_mul_i32 s31, s8, s0
	s_andn2_b32 s31, s31, -2.0
	v_cmp_gt_u32_e32 vcc, s31, v0
	s_waitcnt lgkmcnt(0)
	s_barrier
	s_and_saveexec_b64 s[12:13], vcc
	s_cbranch_execz .LBB35_56
; %bb.9:
	v_xad_u32 v1, v0, -1, s31
	v_lshrrev_b32_e32 v2, 9, v1
	v_add_u32_e32 v2, 1, v2
	v_and_b32_e32 v2, 3, v2
	s_mov_b32 s19, 0
	s_mov_b32 s18, s9
	v_cmp_ne_u32_e32 vcc, 0, v2
	v_mov_b32_e32 v6, v0
	s_and_saveexec_b64 s[22:23], vcc
	s_cbranch_execz .LBB35_21
; %bb.10:
	v_lshlrev_b32_e32 v7, 2, v0
	v_or_b32_e32 v3, 3, v7
	v_mad_u64_u32 v[8:9], s[0:1], v3, s18, 0
	v_or_b32_e32 v3, 2, v7
	v_pk_mov_b32 v[4:5], s[18:19], s[18:19] op_sel:[0,1]
	v_mad_u64_u32 v[10:11], s[0:1], v3, s18, 0
	v_mad_u64_u32 v[12:13], s[0:1], s18, v7, v[4:5]
	;; [unrolled: 1-line block ×3, first 2 shown]
	v_lshlrev_b32_e32 v3, 4, v0
	s_lshl_b64 s[24:25], s[18:19], 11
	v_lshlrev_b64 v[14:15], 2, v[4:5]
	v_mov_b32_e32 v4, s17
	v_add_co_u32_e32 v16, vcc, s16, v3
	s_sub_i32 s9, 0, s8
	v_addc_co_u32_e32 v17, vcc, 0, v4, vcc
	v_lshlrev_b32_e32 v18, 11, v2
	s_mov_b64 s[26:27], 0
	v_mov_b32_e32 v19, s25
	v_mov_b32_e32 v6, v0
	s_branch .LBB35_12
.LBB35_11:                              ;   in Loop: Header=BB35_12 Depth=1
	s_or_b64 exec, exec, s[0:1]
	v_add_co_u32_e32 v8, vcc, s24, v8
	v_addc_co_u32_e32 v9, vcc, v9, v19, vcc
	v_add_co_u32_e32 v10, vcc, s24, v10
	v_addc_co_u32_e32 v11, vcc, v11, v19, vcc
	;; [unrolled: 2-line block ×3, first 2 shown]
	v_add_co_u32_e32 v14, vcc, s24, v14
	s_addk_i32 s19, 0x800
	v_addc_co_u32_e32 v15, vcc, v15, v19, vcc
	v_add_co_u32_e32 v16, vcc, 0x2000, v16
	v_cmp_eq_u32_e64 s[0:1], s19, v18
	v_add_u32_e32 v6, 0x200, v6
	s_or_b64 s[26:27], s[0:1], s[26:27]
	v_addc_co_u32_e32 v17, vcc, 0, v17, vcc
	s_andn2_b64 exec, exec, s[26:27]
	s_cbranch_execz .LBB35_20
.LBB35_12:                              ; =>This Inner Loop Header: Depth=1
	global_load_dwordx4 v[2:5], v[16:17], off
	v_add3_u32 v20, v7, v15, s19
	v_lshrrev_b32_e32 v20, s10, v20
	v_cmp_gt_i32_e64 s[0:1], s28, v20
	s_waitcnt vmcnt(0)
	v_cmp_eq_u32_e32 vcc, s6, v2
	s_and_b64 s[34:35], vcc, s[0:1]
	s_and_saveexec_b64 s[0:1], s[34:35]
	s_cbranch_execz .LBB35_14
; %bb.13:                               ;   in Loop: Header=BB35_12 Depth=1
	v_mul_lo_u32 v2, s9, v20
	v_add3_u32 v2, v7, s19, v2
	v_add_u16_e32 v2, 1, v2
	global_store_byte v20, v2, s[4:5]
.LBB35_14:                              ;   in Loop: Header=BB35_12 Depth=1
	s_or_b64 exec, exec, s[0:1]
	v_add_u32_e32 v2, s19, v7
	v_cmp_eq_u32_e32 vcc, s6, v3
	v_add3_u32 v3, v13, v2, 1
	v_lshrrev_b32_e32 v3, s10, v3
	v_cmp_gt_i32_e64 s[0:1], s28, v3
	s_and_b64 s[34:35], vcc, s[0:1]
	s_and_saveexec_b64 s[0:1], s[34:35]
	s_cbranch_execz .LBB35_16
; %bb.15:                               ;   in Loop: Header=BB35_12 Depth=1
	v_mad_u64_u32 v[20:21], s[34:35], s9, v3, v[2:3]
	v_add_u16_e32 v20, 2, v20
	global_store_byte v3, v20, s[4:5]
.LBB35_16:                              ;   in Loop: Header=BB35_12 Depth=1
	s_or_b64 exec, exec, s[0:1]
	v_add3_u32 v3, v11, v2, 2
	v_lshrrev_b32_e32 v3, s10, v3
	v_cmp_eq_u32_e32 vcc, s6, v4
	v_cmp_gt_i32_e64 s[0:1], s28, v3
	s_and_b64 s[34:35], vcc, s[0:1]
	s_and_saveexec_b64 s[0:1], s[34:35]
	s_cbranch_execz .LBB35_18
; %bb.17:                               ;   in Loop: Header=BB35_12 Depth=1
	v_mad_u64_u32 v[20:21], s[34:35], s9, v3, v[2:3]
	v_add_u16_e32 v4, 3, v20
	global_store_byte v3, v4, s[4:5]
.LBB35_18:                              ;   in Loop: Header=BB35_12 Depth=1
	s_or_b64 exec, exec, s[0:1]
	v_add3_u32 v3, v9, v2, 3
	v_lshrrev_b32_e32 v3, s10, v3
	v_cmp_eq_u32_e32 vcc, s6, v5
	v_cmp_gt_i32_e64 s[0:1], s28, v3
	s_and_b64 s[34:35], vcc, s[0:1]
	s_and_saveexec_b64 s[0:1], s[34:35]
	s_cbranch_execz .LBB35_11
; %bb.19:                               ;   in Loop: Header=BB35_12 Depth=1
	v_mad_u64_u32 v[4:5], s[34:35], s9, v3, v[2:3]
	v_add_u16_e32 v2, 4, v4
	global_store_byte v3, v2, s[4:5]
	s_branch .LBB35_11
.LBB35_20:
	s_or_b64 exec, exec, s[26:27]
.LBB35_21:
	s_or_b64 exec, exec, s[22:23]
	s_movk_i32 s0, 0x5ff
	v_cmp_lt_u32_e32 vcc, s0, v1
	s_and_b64 exec, exec, vcc
	s_cbranch_execz .LBB35_56
; %bb.22:
	v_mov_b32_e32 v7, 0
	v_lshlrev_b64 v[2:3], 4, v[6:7]
	v_lshlrev_b32_e32 v1, 2, v6
	v_mov_b32_e32 v4, s17
	v_add_co_u32_e32 v10, vcc, s16, v2
	s_sub_i32 s19, 0, s8
	v_add_u32_e32 v8, 0x1803, v1
	v_add_u32_e32 v9, 0x1802, v1
	;; [unrolled: 1-line block ×4, first 2 shown]
	v_addc_co_u32_e32 v11, vcc, v4, v3, vcc
	v_add_u32_e32 v7, 0x1003, v1
	v_add_u32_e32 v14, 0x1002, v1
	;; [unrolled: 1-line block ×4, first 2 shown]
	v_or_b32_e32 v17, 1, v1
	v_or_b32_e32 v18, 2, v1
	;; [unrolled: 1-line block ×3, first 2 shown]
	v_add_u32_e32 v20, 0x803, v1
	v_add_u32_e32 v21, 0x802, v1
	;; [unrolled: 1-line block ×4, first 2 shown]
	s_mov_b64 s[8:9], 0
	s_movk_i32 s16, 0xe7fd
	s_movk_i32 s17, 0xe7fe
	;; [unrolled: 1-line block ×12, first 2 shown]
	s_branch .LBB35_24
.LBB35_23:                              ;   in Loop: Header=BB35_24 Depth=1
	s_or_b64 exec, exec, s[0:1]
	v_add_co_u32_e32 v10, vcc, 0x8000, v10
	v_add_u32_e32 v6, 0x800, v6
	v_addc_co_u32_e32 v11, vcc, 0, v11, vcc
	v_cmp_le_u32_e32 vcc, s31, v6
	v_add_u32_e32 v8, 0x2000, v8
	v_add_u32_e32 v9, 0x2000, v9
	;; [unrolled: 1-line block ×15, first 2 shown]
	s_or_b64 s[8:9], vcc, s[8:9]
	v_add_u32_e32 v23, 0x2000, v23
	s_andn2_b64 exec, exec, s[8:9]
	s_cbranch_execz .LBB35_56
.LBB35_24:                              ; =>This Inner Loop Header: Depth=1
	global_load_dwordx4 v[2:5], v[10:11], off
	v_mul_hi_u32 v24, s18, v1
	v_add3_u32 v24, v8, v24, s16
	v_lshrrev_b32_e32 v24, s10, v24
	v_cmp_gt_i32_e64 s[0:1], s28, v24
	s_waitcnt vmcnt(0)
	v_cmp_eq_u32_e32 vcc, s6, v2
	s_and_b64 s[38:39], vcc, s[0:1]
	s_and_saveexec_b64 s[0:1], s[38:39]
	s_cbranch_execz .LBB35_26
; %bb.25:                               ;   in Loop: Header=BB35_24 Depth=1
	v_mad_u64_u32 v[26:27], s[38:39], s19, v24, v[8:9]
	v_add_u16_e32 v2, -2, v26
	global_store_byte v24, v2, s[4:5]
.LBB35_26:                              ;   in Loop: Header=BB35_24 Depth=1
	s_or_b64 exec, exec, s[0:1]
	v_mul_hi_u32 v2, s18, v17
	v_add3_u32 v2, v8, v2, s17
	v_lshrrev_b32_e32 v2, s10, v2
	v_cmp_eq_u32_e32 vcc, s6, v3
	v_cmp_gt_i32_e64 s[0:1], s28, v2
	s_and_b64 s[38:39], vcc, s[0:1]
	s_and_saveexec_b64 s[0:1], s[38:39]
	s_cbranch_execz .LBB35_28
; %bb.27:                               ;   in Loop: Header=BB35_24 Depth=1
	v_mad_u64_u32 v[24:25], s[38:39], s19, v2, v[8:9]
	v_add_u16_e32 v3, -1, v24
	global_store_byte v2, v3, s[4:5]
.LBB35_28:                              ;   in Loop: Header=BB35_24 Depth=1
	s_or_b64 exec, exec, s[0:1]
	v_mul_hi_u32 v2, s18, v18
	v_add3_u32 v2, v8, v2, s22
	v_lshrrev_b32_e32 v2, s10, v2
	v_cmp_eq_u32_e32 vcc, s6, v4
	v_cmp_gt_i32_e64 s[0:1], s28, v2
	s_and_b64 s[38:39], vcc, s[0:1]
	s_and_saveexec_b64 s[0:1], s[38:39]
	s_cbranch_execz .LBB35_30
; %bb.29:                               ;   in Loop: Header=BB35_24 Depth=1
	v_mad_u64_u32 v[24:25], s[38:39], s19, v2, v[8:9]
	global_store_byte v2, v24, s[4:5]
.LBB35_30:                              ;   in Loop: Header=BB35_24 Depth=1
	s_or_b64 exec, exec, s[0:1]
	v_mul_hi_u32 v2, s18, v19
	v_add3_u32 v2, v8, v2, s23
	v_lshrrev_b32_e32 v2, s10, v2
	v_cmp_eq_u32_e32 vcc, s6, v5
	v_cmp_gt_i32_e64 s[0:1], s28, v2
	s_and_b64 s[38:39], vcc, s[0:1]
	s_and_saveexec_b64 s[0:1], s[38:39]
	s_cbranch_execz .LBB35_32
; %bb.31:                               ;   in Loop: Header=BB35_24 Depth=1
	v_mad_u64_u32 v[4:5], s[38:39], s19, v2, v[8:9]
	v_add_u16_e32 v3, 1, v4
	global_store_byte v2, v3, s[4:5]
.LBB35_32:                              ;   in Loop: Header=BB35_24 Depth=1
	s_or_b64 exec, exec, s[0:1]
	v_add_co_u32_e32 v2, vcc, 0x2000, v10
	v_addc_co_u32_e32 v3, vcc, 0, v11, vcc
	global_load_dwordx4 v[2:5], v[2:3], off
	v_mul_hi_u32 v24, s18, v23
	v_add3_u32 v24, v8, v24, s24
	v_lshrrev_b32_e32 v24, s10, v24
	v_cmp_gt_i32_e64 s[0:1], s28, v24
	s_waitcnt vmcnt(0)
	v_cmp_eq_u32_e32 vcc, s6, v2
	s_and_b64 s[38:39], vcc, s[0:1]
	s_and_saveexec_b64 s[0:1], s[38:39]
	s_cbranch_execz .LBB35_34
; %bb.33:                               ;   in Loop: Header=BB35_24 Depth=1
	v_mad_u64_u32 v[26:27], s[38:39], s19, v24, v[8:9]
	v_add_u16_e32 v2, -2, v26
	global_store_byte v24, v2, s[4:5]
.LBB35_34:                              ;   in Loop: Header=BB35_24 Depth=1
	s_or_b64 exec, exec, s[0:1]
	v_mul_hi_u32 v2, s18, v22
	v_add3_u32 v2, v8, v2, s25
	v_lshrrev_b32_e32 v2, s10, v2
	v_cmp_eq_u32_e32 vcc, s6, v3
	v_cmp_gt_i32_e64 s[0:1], s28, v2
	s_and_b64 s[38:39], vcc, s[0:1]
	s_and_saveexec_b64 s[0:1], s[38:39]
	s_cbranch_execz .LBB35_36
; %bb.35:                               ;   in Loop: Header=BB35_24 Depth=1
	v_mad_u64_u32 v[24:25], s[38:39], s19, v2, v[8:9]
	v_add_u16_e32 v3, -1, v24
	global_store_byte v2, v3, s[4:5]
.LBB35_36:                              ;   in Loop: Header=BB35_24 Depth=1
	s_or_b64 exec, exec, s[0:1]
	v_mul_hi_u32 v2, s18, v21
	v_add3_u32 v2, v8, v2, s26
	v_lshrrev_b32_e32 v2, s10, v2
	v_cmp_eq_u32_e32 vcc, s6, v4
	v_cmp_gt_i32_e64 s[0:1], s28, v2
	s_and_b64 s[38:39], vcc, s[0:1]
	s_and_saveexec_b64 s[0:1], s[38:39]
	s_cbranch_execz .LBB35_38
; %bb.37:                               ;   in Loop: Header=BB35_24 Depth=1
	v_mad_u64_u32 v[24:25], s[38:39], s19, v2, v[8:9]
	global_store_byte v2, v24, s[4:5]
.LBB35_38:                              ;   in Loop: Header=BB35_24 Depth=1
	s_or_b64 exec, exec, s[0:1]
	v_mul_hi_u32 v2, s18, v20
	v_add3_u32 v2, v8, v2, s27
	v_lshrrev_b32_e32 v2, s10, v2
	v_cmp_eq_u32_e32 vcc, s6, v5
	v_cmp_gt_i32_e64 s[0:1], s28, v2
	s_and_b64 s[38:39], vcc, s[0:1]
	s_and_saveexec_b64 s[0:1], s[38:39]
	s_cbranch_execz .LBB35_40
; %bb.39:                               ;   in Loop: Header=BB35_24 Depth=1
	v_mad_u64_u32 v[4:5], s[38:39], s19, v2, v[8:9]
	v_add_u16_e32 v3, 1, v4
	global_store_byte v2, v3, s[4:5]
.LBB35_40:                              ;   in Loop: Header=BB35_24 Depth=1
	s_or_b64 exec, exec, s[0:1]
	v_add_co_u32_e32 v2, vcc, 0x4000, v10
	v_addc_co_u32_e32 v3, vcc, 0, v11, vcc
	;; [unrolled: 59-line block ×3, first 2 shown]
	global_load_dwordx4 v[2:5], v[2:3], off
	v_mul_hi_u32 v24, s18, v13
	v_add3_u32 v24, v8, v24, -3
	v_lshrrev_b32_e32 v24, s10, v24
	v_cmp_gt_i32_e64 s[0:1], s28, v24
	s_waitcnt vmcnt(0)
	v_cmp_eq_u32_e32 vcc, s6, v2
	s_and_b64 s[38:39], vcc, s[0:1]
	s_and_saveexec_b64 s[0:1], s[38:39]
	s_cbranch_execz .LBB35_50
; %bb.49:                               ;   in Loop: Header=BB35_24 Depth=1
	v_mad_u64_u32 v[26:27], s[38:39], s19, v24, v[8:9]
	v_add_u16_e32 v2, -2, v26
	global_store_byte v24, v2, s[4:5]
.LBB35_50:                              ;   in Loop: Header=BB35_24 Depth=1
	s_or_b64 exec, exec, s[0:1]
	v_mul_hi_u32 v2, s18, v12
	v_add3_u32 v2, v8, v2, -2
	v_lshrrev_b32_e32 v2, s10, v2
	v_cmp_eq_u32_e32 vcc, s6, v3
	v_cmp_gt_i32_e64 s[0:1], s28, v2
	s_and_b64 s[38:39], vcc, s[0:1]
	s_and_saveexec_b64 s[0:1], s[38:39]
	s_cbranch_execz .LBB35_52
; %bb.51:                               ;   in Loop: Header=BB35_24 Depth=1
	v_mad_u64_u32 v[24:25], s[38:39], s19, v2, v[8:9]
	v_add_u16_e32 v3, -1, v24
	global_store_byte v2, v3, s[4:5]
.LBB35_52:                              ;   in Loop: Header=BB35_24 Depth=1
	s_or_b64 exec, exec, s[0:1]
	v_mul_hi_u32 v2, s18, v9
	v_add3_u32 v2, v8, v2, -1
	v_lshrrev_b32_e32 v2, s10, v2
	v_cmp_eq_u32_e32 vcc, s6, v4
	v_cmp_gt_i32_e64 s[0:1], s28, v2
	s_and_b64 s[38:39], vcc, s[0:1]
	s_and_saveexec_b64 s[0:1], s[38:39]
	s_cbranch_execz .LBB35_54
; %bb.53:                               ;   in Loop: Header=BB35_24 Depth=1
	v_mad_u64_u32 v[24:25], s[38:39], s19, v2, v[8:9]
	global_store_byte v2, v24, s[4:5]
.LBB35_54:                              ;   in Loop: Header=BB35_24 Depth=1
	s_or_b64 exec, exec, s[0:1]
	v_mul_hi_u32 v2, s18, v8
	v_add_u32_e32 v2, v8, v2
	v_lshrrev_b32_e32 v2, s10, v2
	v_cmp_eq_u32_e32 vcc, s6, v5
	v_cmp_gt_i32_e64 s[0:1], s28, v2
	s_and_b64 s[38:39], vcc, s[0:1]
	s_and_saveexec_b64 s[0:1], s[38:39]
	s_cbranch_execz .LBB35_23
; %bb.55:                               ;   in Loop: Header=BB35_24 Depth=1
	v_mad_u64_u32 v[4:5], s[38:39], s19, v2, v[8:9]
	v_add_u16_e32 v3, 1, v4
	global_store_byte v2, v3, s[4:5]
	s_branch .LBB35_23
.LBB35_56:
	s_or_b64 exec, exec, s[12:13]
	s_ashr_i32 s0, s29, 5
	s_cmp_eq_u32 s30, 0
	s_barrier
	s_cbranch_scc1 .LBB35_67
; %bb.57:
	s_cmp_lt_i32 s28, 1
	s_cbranch_scc1 .LBB35_62
; %bb.58:
	s_lshl_b32 s4, s0, 3
	s_add_i32 s0, s4, 0x1ff
	s_ashr_i32 s1, s0, 31
	s_lshr_b32 s1, s1, 23
	s_add_i32 s0, s0, s1
	s_ashr_i32 s0, s0, 9
	v_mbcnt_lo_u32_b32 v2, -1, 0
	v_mbcnt_hi_u32_b32 v2, -1, v2
	s_max_i32 s5, s0, 1
	v_lshlrev_b32_e32 v2, 2, v2
	s_add_u32 s0, s20, s7
	v_xor_b32_e32 v4, 4, v2
	v_xor_b32_e32 v5, 8, v2
	;; [unrolled: 1-line block ×6, first 2 shown]
	v_lshlrev_b32_e32 v2, 2, v0
	s_addc_u32 s1, s21, s11
	v_mov_b32_e32 v3, s1
	v_add_co_u32_e32 v2, vcc, s0, v2
	v_mov_b32_e32 v1, 0
	v_addc_co_u32_e32 v3, vcc, 0, v3, vcc
	s_movk_i32 s6, 0xff
	v_mov_b32_e32 v11, v0
	v_mov_b32_e32 v6, 0
	s_branch .LBB35_60
.LBB35_59:                              ;   in Loop: Header=BB35_60 Depth=1
	s_or_b64 exec, exec, s[0:1]
	s_waitcnt vmcnt(0)
	v_lshrrev_b32_e32 v13, 8, v12
	v_cmp_ne_u16_sdwa s[0:1], v13, v1 src0_sel:BYTE_0 src1_sel:DWORD
	v_cndmask_b32_e64 v13, 0, 1, s[0:1]
	v_cmp_ne_u16_sdwa vcc, v12, v1 src0_sel:BYTE_0 src1_sel:DWORD
	v_addc_co_u32_e32 v13, vcc, 0, v13, vcc
	v_and_b32_sdwa v14, v12, s6 dst_sel:DWORD dst_unused:UNUSED_PAD src0_sel:WORD_1 src1_sel:DWORD
	v_cmp_ne_u16_e32 vcc, 0, v14
	v_cndmask_b32_e64 v14, 0, 1, vcc
	v_cmp_ne_u16_sdwa vcc, v12, v1 src0_sel:BYTE_3 src1_sel:DWORD
	v_addc_co_u32_e32 v12, vcc, v13, v14, vcc
	ds_bpermute_b32 v13, v4, v12
	s_add_i32 s5, s5, -1
	v_add_co_u32_e32 v2, vcc, 0x800, v2
	v_addc_co_u32_e32 v3, vcc, 0, v3, vcc
	s_waitcnt lgkmcnt(0)
	v_add_u32_e32 v12, v12, v13
	ds_bpermute_b32 v13, v5, v12
	s_cmp_eq_u32 s5, 0
	v_add_u32_e32 v11, 0x200, v11
	s_waitcnt lgkmcnt(0)
	v_add_u32_e32 v12, v12, v13
	ds_bpermute_b32 v13, v7, v12
	s_waitcnt lgkmcnt(0)
	v_add_u32_e32 v12, v12, v13
	ds_bpermute_b32 v13, v8, v12
	;; [unrolled: 3-line block ×4, first 2 shown]
	s_waitcnt lgkmcnt(0)
	v_add3_u32 v6, v13, v6, v12
	s_cbranch_scc1 .LBB35_63
.LBB35_60:                              ; =>This Inner Loop Header: Depth=1
	v_cmp_gt_i32_e32 vcc, s4, v11
	v_mov_b32_e32 v12, 0
	s_and_saveexec_b64 s[0:1], vcc
	s_cbranch_execz .LBB35_59
; %bb.61:                               ;   in Loop: Header=BB35_60 Depth=1
	global_load_dword v12, v[2:3], off
	s_branch .LBB35_59
.LBB35_62:
	v_mov_b32_e32 v6, 0
.LBB35_63:
	v_and_b32_e32 v1, 63, v0
	v_cmp_eq_u32_e32 vcc, 0, v1
	s_and_saveexec_b64 s[0:1], vcc
	s_cbranch_execz .LBB35_65
; %bb.64:
	v_lshrrev_b32_e32 v1, 4, v0
	v_and_b32_e32 v1, 60, v1
	ds_write_b32 v1, v6
.LBB35_65:
	s_or_b64 exec, exec, s[0:1]
	v_cmp_eq_u32_e32 vcc, 0, v0
	s_waitcnt lgkmcnt(0)
	s_barrier
	s_and_saveexec_b64 s[0:1], vcc
	s_cbranch_execz .LBB35_67
; %bb.66:
	v_mov_b32_e32 v8, 0
	ds_read_b128 v[0:3], v8
	ds_read_b128 v[4:7], v8 offset:16
	s_add_u32 s0, s14, s2
	s_addc_u32 s1, s15, s3
	s_waitcnt lgkmcnt(1)
	v_add_u32_e32 v0, v1, v0
	v_add_u32_e32 v0, v0, v2
	v_add_u32_e32 v0, v0, v3
	s_waitcnt lgkmcnt(0)
	v_add_u32_e32 v0, v0, v4
	v_add_u32_e32 v0, v0, v5
	;; [unrolled: 1-line block ×4, first 2 shown]
	global_store_dword v8, v0, s[0:1]
.LBB35_67:
	s_endpgm
	.section	.rodata,"a",@progbits
	.p2align	6, 0x0
	.amdhsa_kernel _ZN5aiter22opus_moe_sorting_entryINS_32MoeSortingMultiPhaseKernel_P0_v2INS_19MoeSortingProblemMpIifhLi4ELb1ELb1ELb1EEEEENS4_5KargsEEEvT0_
		.amdhsa_group_segment_fixed_size 32
		.amdhsa_private_segment_fixed_size 0
		.amdhsa_kernarg_size 72
		.amdhsa_user_sgpr_count 6
		.amdhsa_user_sgpr_private_segment_buffer 1
		.amdhsa_user_sgpr_dispatch_ptr 0
		.amdhsa_user_sgpr_queue_ptr 0
		.amdhsa_user_sgpr_kernarg_segment_ptr 1
		.amdhsa_user_sgpr_dispatch_id 0
		.amdhsa_user_sgpr_flat_scratch_init 0
		.amdhsa_user_sgpr_kernarg_preload_length 0
		.amdhsa_user_sgpr_kernarg_preload_offset 0
		.amdhsa_user_sgpr_private_segment_size 0
		.amdhsa_uses_dynamic_stack 0
		.amdhsa_system_sgpr_private_segment_wavefront_offset 0
		.amdhsa_system_sgpr_workgroup_id_x 1
		.amdhsa_system_sgpr_workgroup_id_y 0
		.amdhsa_system_sgpr_workgroup_id_z 0
		.amdhsa_system_sgpr_workgroup_info 0
		.amdhsa_system_vgpr_workitem_id 0
		.amdhsa_next_free_vgpr 32
		.amdhsa_next_free_sgpr 40
		.amdhsa_accum_offset 32
		.amdhsa_reserve_vcc 1
		.amdhsa_reserve_flat_scratch 0
		.amdhsa_float_round_mode_32 0
		.amdhsa_float_round_mode_16_64 0
		.amdhsa_float_denorm_mode_32 3
		.amdhsa_float_denorm_mode_16_64 3
		.amdhsa_dx10_clamp 1
		.amdhsa_ieee_mode 1
		.amdhsa_fp16_overflow 0
		.amdhsa_tg_split 0
		.amdhsa_exception_fp_ieee_invalid_op 0
		.amdhsa_exception_fp_denorm_src 0
		.amdhsa_exception_fp_ieee_div_zero 0
		.amdhsa_exception_fp_ieee_overflow 0
		.amdhsa_exception_fp_ieee_underflow 0
		.amdhsa_exception_fp_ieee_inexact 0
		.amdhsa_exception_int_div_zero 0
	.end_amdhsa_kernel
	.section	.text._ZN5aiter22opus_moe_sorting_entryINS_32MoeSortingMultiPhaseKernel_P0_v2INS_19MoeSortingProblemMpIifhLi4ELb1ELb1ELb1EEEEENS4_5KargsEEEvT0_,"axG",@progbits,_ZN5aiter22opus_moe_sorting_entryINS_32MoeSortingMultiPhaseKernel_P0_v2INS_19MoeSortingProblemMpIifhLi4ELb1ELb1ELb1EEEEENS4_5KargsEEEvT0_,comdat
.Lfunc_end35:
	.size	_ZN5aiter22opus_moe_sorting_entryINS_32MoeSortingMultiPhaseKernel_P0_v2INS_19MoeSortingProblemMpIifhLi4ELb1ELb1ELb1EEEEENS4_5KargsEEEvT0_, .Lfunc_end35-_ZN5aiter22opus_moe_sorting_entryINS_32MoeSortingMultiPhaseKernel_P0_v2INS_19MoeSortingProblemMpIifhLi4ELb1ELb1ELb1EEEEENS4_5KargsEEEvT0_
                                        ; -- End function
	.section	.AMDGPU.csdata,"",@progbits
; Kernel info:
; codeLenInByte = 3184
; NumSgprs: 44
; NumVgprs: 32
; NumAgprs: 0
; TotalNumVgprs: 32
; ScratchSize: 0
; MemoryBound: 0
; FloatMode: 240
; IeeeMode: 1
; LDSByteSize: 32 bytes/workgroup (compile time only)
; SGPRBlocks: 5
; VGPRBlocks: 3
; NumSGPRsForWavesPerEU: 44
; NumVGPRsForWavesPerEU: 32
; AccumOffset: 32
; Occupancy: 8
; WaveLimiterHint : 1
; COMPUTE_PGM_RSRC2:SCRATCH_EN: 0
; COMPUTE_PGM_RSRC2:USER_SGPR: 6
; COMPUTE_PGM_RSRC2:TRAP_HANDLER: 0
; COMPUTE_PGM_RSRC2:TGID_X_EN: 1
; COMPUTE_PGM_RSRC2:TGID_Y_EN: 0
; COMPUTE_PGM_RSRC2:TGID_Z_EN: 0
; COMPUTE_PGM_RSRC2:TIDIG_COMP_CNT: 0
; COMPUTE_PGM_RSRC3_GFX90A:ACCUM_OFFSET: 7
; COMPUTE_PGM_RSRC3_GFX90A:TG_SPLIT: 0
	.section	.text._ZN5aiter22opus_moe_sorting_entryINS_30MoeSortingMultiPhaseKernel_P23INS_19MoeSortingProblemMpIifhLi16ELb1ELb1ELb1EEEEENS4_5KargsEEEvT0_,"axG",@progbits,_ZN5aiter22opus_moe_sorting_entryINS_30MoeSortingMultiPhaseKernel_P23INS_19MoeSortingProblemMpIifhLi16ELb1ELb1ELb1EEEEENS4_5KargsEEEvT0_,comdat
	.protected	_ZN5aiter22opus_moe_sorting_entryINS_30MoeSortingMultiPhaseKernel_P23INS_19MoeSortingProblemMpIifhLi16ELb1ELb1ELb1EEEEENS4_5KargsEEEvT0_ ; -- Begin function _ZN5aiter22opus_moe_sorting_entryINS_30MoeSortingMultiPhaseKernel_P23INS_19MoeSortingProblemMpIifhLi16ELb1ELb1ELb1EEEEENS4_5KargsEEEvT0_
	.globl	_ZN5aiter22opus_moe_sorting_entryINS_30MoeSortingMultiPhaseKernel_P23INS_19MoeSortingProblemMpIifhLi16ELb1ELb1ELb1EEEEENS4_5KargsEEEvT0_
	.p2align	8
	.type	_ZN5aiter22opus_moe_sorting_entryINS_30MoeSortingMultiPhaseKernel_P23INS_19MoeSortingProblemMpIifhLi16ELb1ELb1ELb1EEEEENS4_5KargsEEEvT0_,@function
_ZN5aiter22opus_moe_sorting_entryINS_30MoeSortingMultiPhaseKernel_P23INS_19MoeSortingProblemMpIifhLi16ELb1ELb1ELb1EEEEENS4_5KargsEEEvT0_: ; @_ZN5aiter22opus_moe_sorting_entryINS_30MoeSortingMultiPhaseKernel_P23INS_19MoeSortingProblemMpIifhLi16ELb1ELb1ELb1EEEEENS4_5KargsEEEvT0_
; %bb.0:
	s_load_dwordx16 s[36:51], s[4:5], 0x0
	s_load_dword s7, s[4:5], 0x64
	s_load_dwordx8 s[52:59], s[4:5], 0x40
	s_mov_b64 s[0:1], -1
	s_waitcnt lgkmcnt(0)
	s_load_dword s33, s[42:43], 0x0
	s_cmp_lt_i32 s6, s7
	s_cbranch_scc1 .LBB36_5
; %bb.1:
	s_load_dwordx2 s[0:1], s[4:5], 0x84
	s_sub_i32 s8, s6, s7
	v_lshl_add_u32 v2, s8, 8, v0
	v_mov_b32_e32 v3, 0
	s_waitcnt lgkmcnt(0)
	s_ashr_i32 s2, s0, 31
	s_mul_hi_i32 s3, s1, s33
	s_mul_i32 s1, s1, s33
	s_mul_i32 s2, s1, s2
	s_mul_hi_u32 s9, s1, s0
	s_add_i32 s2, s9, s2
	s_mul_i32 s3, s3, s0
	s_add_i32 s2, s2, s3
	s_mul_i32 s1, s1, s0
	s_ashr_i32 s0, s2, 31
	s_lshr_b32 s0, s0, 28
	s_add_u32 s0, s1, s0
	s_addc_u32 s1, s2, 0
	s_ashr_i64 s[2:3], s[0:1], 4
	v_cmp_gt_i64_e32 vcc, s[2:3], v[2:3]
	s_and_saveexec_b64 s[8:9], vcc
	s_cbranch_execz .LBB36_4
; %bb.2:
	s_load_dword s0, s[4:5], 0x90
	v_lshlrev_b64 v[4:5], 4, v[2:3]
	v_mov_b32_e32 v1, s57
	v_add_co_u32_e32 v8, vcc, s56, v4
	s_waitcnt lgkmcnt(0)
	s_sub_i32 s0, s0, s7
	s_lshl_b32 s10, s0, 8
	s_ashr_i32 s11, s10, 31
	s_lshl_b64 s[12:13], s[10:11], 4
	v_pk_mov_b32 v[6:7], v[2:3], v[2:3] op_sel:[0,1]
	v_addc_co_u32_e32 v9, vcc, v1, v5, vcc
	s_mov_b64 s[14:15], 0
	v_mov_b32_e32 v2, v3
	v_mov_b32_e32 v4, v3
	;; [unrolled: 1-line block ×5, first 2 shown]
.LBB36_3:                               ; =>This Inner Loop Header: Depth=1
	v_add_co_u32_e32 v6, vcc, s10, v6
	v_addc_co_u32_e32 v7, vcc, v7, v1, vcc
	global_store_dwordx4 v[8:9], v[2:5], off
	v_add_co_u32_e32 v8, vcc, s12, v8
	v_cmp_le_i64_e64 s[0:1], s[2:3], v[6:7]
	s_or_b64 s[14:15], s[0:1], s[14:15]
	v_addc_co_u32_e32 v9, vcc, v9, v10, vcc
	s_andn2_b64 exec, exec, s[14:15]
	s_cbranch_execnz .LBB36_3
.LBB36_4:
	s_or_b64 exec, exec, s[8:9]
	s_mov_b64 s[0:1], 0
.LBB36_5:
	s_andn2_b64 vcc, exec, s[0:1]
	s_cbranch_vccnz .LBB36_92
; %bb.6:
	s_load_dwordx4 s[28:31], s[4:5], 0x6c
	s_lshl_b32 s0, s7, 2
	s_add_i32 s42, s0, 0
	s_add_i32 s42, s42, 48
	s_mov_b32 s43, 0
	v_lshrrev_b32_e32 v8, 6, v0
	s_cmp_lt_i32 s7, 1
	v_and_b32_e32 v10, 63, v0
	s_cbranch_scc1 .LBB36_29
; %bb.7:
	s_add_i32 s0, s7, 0xff
	s_lshr_b32 s56, s0, 8
	s_waitcnt lgkmcnt(0)
	s_add_i32 s57, s28, -1
	v_mbcnt_lo_u32_b32 v2, -1, 0
	v_mbcnt_hi_u32_b32 v2, -1, v2
	s_cmp_lg_u64 s[58:59], 0
	v_lshlrev_b32_e32 v3, 2, v2
	s_cselect_b64 s[16:17], -1, 0
	s_movk_i32 s14, 0xff
	v_and_b32_e32 v3, 0xc0, v3
	v_cmp_lt_u32_e64 s[0:1], 15, v2
	v_cmp_lt_u32_e64 s[2:3], 31, v2
	s_movk_i32 s10, 0x7f
	s_movk_i32 s12, 0xbf
	s_cmp_eq_u32 s6, 0
	v_cndmask_b32_e64 v2, 0, 1, s[16:17]
	v_mov_b32_e32 v1, 0
	v_add_u32_e32 v9, -4, v3
	v_add_u32_e32 v11, 0xffffffbc, v3
	v_cmp_eq_u32_e64 s[4:5], 63, v10
	v_lshl_add_u32 v12, v8, 2, 0
	v_cmp_gt_u32_e64 s[8:9], 64, v0
	v_cmp_lt_u32_e64 s[10:11], s10, v0
	v_cmp_lt_u32_e64 s[12:13], s12, v0
	v_cmp_eq_u32_e64 s[14:15], s14, v0
	s_cselect_b64 s[20:21], -1, 0
	s_add_i32 s60, s42, 4
	v_cmp_ne_u32_e64 s[16:17], 1, v2
	v_mov_b32_e32 v13, 0
	v_mov_b32_e32 v3, 0
.LBB36_8:                               ; =>This Loop Header: Depth=1
                                        ;     Child Loop BB36_21 Depth 2
                                        ;     Child Loop BB36_26 Depth 2
	v_lshl_add_u32 v6, s43, 8, v0
	v_cmp_gt_i32_e32 vcc, s7, v6
	v_mov_b32_e32 v5, 0
	v_mov_b32_e32 v2, 0
	s_and_saveexec_b64 s[22:23], vcc
	s_cbranch_execz .LBB36_10
; %bb.9:                                ;   in Loop: Header=BB36_8 Depth=1
	v_ashrrev_i32_e32 v7, 31, v6
	v_lshlrev_b64 v[4:5], 2, v[6:7]
	v_mov_b32_e32 v2, s47
	v_add_co_u32_e64 v14, s[18:19], s46, v4
	v_addc_co_u32_e64 v15, s[18:19], v2, v5, s[18:19]
	v_mov_b32_e32 v2, s41
	v_add_co_u32_e64 v4, s[18:19], s40, v4
	v_addc_co_u32_e64 v5, s[18:19], v2, v5, s[18:19]
	global_load_dword v2, v[14:15], off
	s_nop 0
	global_load_dword v5, v[4:5], off
.LBB36_10:                              ;   in Loop: Header=BB36_8 Depth=1
	s_or_b64 exec, exec, s[22:23]
	s_waitcnt vmcnt(1)
	v_add_u32_e32 v2, s57, v2
	v_mul_hi_u32 v4, v2, s29
	v_add_u32_e32 v2, v2, v4
	v_lshrrev_b32_e32 v14, s30, v2
	s_waitcnt vmcnt(0)
	v_cmp_eq_u32_e64 s[18:19], 0, v5
	v_cndmask_b32_e64 v7, v14, 0, s[18:19]
	v_add_u32_dpp v19, v5, v5 row_shr:1 row_mask:0xf bank_mask:0xf bound_ctrl:1
	s_nop 0
	v_mov_b32_dpp v15, v7 row_shr:1 row_mask:0xf bank_mask:0xf bound_ctrl:1
	v_add_u32_e32 v2, v7, v15
	v_add_u32_dpp v19, v19, v19 row_shr:2 row_mask:0xf bank_mask:0xf bound_ctrl:1
	s_barrier
	v_mov_b32_dpp v16, v2 row_shr:2 row_mask:0xf bank_mask:0xf bound_ctrl:1
	v_add_u32_e32 v2, v2, v16
	v_add_u32_dpp v19, v19, v19 row_shr:4 row_mask:0xf bank_mask:0xf bound_ctrl:1
	s_nop 0
	v_mov_b32_dpp v17, v2 row_shr:4 row_mask:0xf bank_mask:0xf bound_ctrl:1
	v_add_u32_e32 v2, v2, v17
	v_add_u32_dpp v20, v19, v19 row_shr:8 row_mask:0xf bank_mask:0xf bound_ctrl:1
	ds_bpermute_b32 v21, v9, v20
	v_mov_b32_dpp v18, v2 row_shr:8 row_mask:0xf bank_mask:0xf bound_ctrl:1
	v_add_u32_e32 v2, v2, v18
	ds_bpermute_b32 v4, v9, v2
	s_waitcnt lgkmcnt(1)
	v_cndmask_b32_e64 v21, 0, v21, s[0:1]
	v_add_u32_e32 v21, v21, v20
	ds_bpermute_b32 v22, v11, v21
	s_waitcnt lgkmcnt(1)
	v_cndmask_b32_e64 v19, 0, v4, s[0:1]
	;; [unrolled: 4-line block ×3, first 2 shown]
	v_cndmask_b32_e64 v4, 0, v22, s[2:3]
	v_add_u32_e32 v2, v2, v20
	v_add_u32_e32 v4, v4, v21
	s_and_saveexec_b64 s[22:23], s[4:5]
	s_cbranch_execz .LBB36_12
; %bb.11:                               ;   in Loop: Header=BB36_8 Depth=1
	ds_write2_b32 v12, v2, v4 offset0:4 offset1:8
.LBB36_12:                              ;   in Loop: Header=BB36_8 Depth=1
	s_or_b64 exec, exec, s[22:23]
	s_waitcnt lgkmcnt(0)
	s_barrier
	ds_read2_b32 v[22:23], v1 offset0:4 offset1:5
	ds_read2_b32 v[24:25], v1 offset0:8 offset1:9
	;; [unrolled: 1-line block ×3, first 2 shown]
	s_waitcnt lgkmcnt(2)
	v_cndmask_b32_e64 v21, v22, 0, s[8:9]
	s_waitcnt lgkmcnt(1)
	v_cndmask_b32_e64 v28, v24, 0, s[8:9]
	v_cndmask_b32_e64 v22, 0, v23, s[10:11]
	s_waitcnt lgkmcnt(0)
	v_cndmask_b32_e64 v23, 0, v26, s[12:13]
	v_add3_u32 v2, v2, v13, v21
	v_cndmask_b32_e64 v25, 0, v25, s[10:11]
	v_cndmask_b32_e64 v26, 0, v27, s[12:13]
	v_add3_u32 v24, v2, v22, v23
	v_add3_u32 v2, v4, v3, v28
	;; [unrolled: 1-line block ×3, first 2 shown]
	s_and_saveexec_b64 s[22:23], s[14:15]
	s_cbranch_execz .LBB36_14
; %bb.13:                               ;   in Loop: Header=BB36_8 Depth=1
	ds_write2_b32 v1, v24, v4 offset0:2 offset1:3
.LBB36_14:                              ;   in Loop: Header=BB36_8 Depth=1
	s_or_b64 exec, exec, s[22:23]
	s_waitcnt lgkmcnt(0)
	s_barrier
	ds_read2_b32 v[2:3], v1 offset0:2 offset1:3
	v_sub_u32_e32 v4, v4, v5
	s_and_saveexec_b64 s[22:23], vcc
	s_cbranch_execz .LBB36_17
; %bb.15:                               ;   in Loop: Header=BB36_8 Depth=1
	v_sub_u32_e32 v7, v24, v7
	v_mul_lo_u32 v7, v7, s28
	v_lshl_add_u32 v24, v6, 2, 0
	s_and_b64 vcc, exec, s[16:17]
	ds_write_b32 v24, v7 offset:48
	s_cbranch_vccnz .LBB36_17
; %bb.16:                               ;   in Loop: Header=BB36_8 Depth=1
	v_cndmask_b32_e64 v7, v4, -1, s[18:19]
	v_lshl_add_u32 v6, v6, 2, s60
	ds_write_b32 v6, v7
.LBB36_17:                              ;   in Loop: Header=BB36_8 Depth=1
	s_or_b64 exec, exec, s[22:23]
	v_cmp_ne_u32_e32 vcc, 0, v5
	s_and_b64 s[18:19], s[20:21], vcc
	v_cmp_lt_i32_e32 vcc, 0, v14
	s_and_b64 s[22:23], s[18:19], vcc
	s_and_saveexec_b64 s[18:19], s[22:23]
	s_cbranch_execz .LBB36_27
; %bb.18:                               ;   in Loop: Header=BB36_8 Depth=1
	v_cmp_gt_u32_e64 s[22:23], 10, v14
	v_cmp_lt_u32_e32 vcc, 9, v14
	v_mov_b32_e32 v24, 0
	s_and_saveexec_b64 s[24:25], vcc
	s_cbranch_execz .LBB36_24
; %bb.19:                               ;   in Loop: Header=BB36_8 Depth=1
	v_add_u32_e32 v5, v19, v20
	v_add3_u32 v5, v5, v22, v23
	v_add3_u32 v5, v5, v21, v15
	;; [unrolled: 1-line block ×4, first 2 shown]
	v_add3_u32 v5, v14, v6, -1
	v_cmp_ge_i32_e32 vcc, v5, v6
	s_mov_b64 s[34:35], -1
	v_mov_b32_e32 v24, 0
	s_and_saveexec_b64 s[26:27], vcc
	s_cbranch_execz .LBB36_23
; %bb.20:                               ;   in Loop: Header=BB36_8 Depth=1
	v_and_b32_e32 v24, 0x7ffffffe, v14
	v_mov_b32_e32 v5, v4
	s_mov_b64 s[34:35], 0
	v_mov_b32_e32 v25, v24
.LBB36_21:                              ;   Parent Loop BB36_8 Depth=1
                                        ; =>  This Inner Loop Header: Depth=2
	v_ashrrev_i32_e32 v7, 31, v6
	v_lshlrev_b64 v[26:27], 2, v[6:7]
	v_mov_b32_e32 v7, s51
	v_add_co_u32_e32 v26, vcc, s50, v26
	v_addc_co_u32_e32 v27, vcc, v7, v27, vcc
	v_add_u32_e32 v25, -2, v25
	v_cmp_eq_u32_e32 vcc, 0, v25
	s_or_b64 s[34:35], vcc, s[34:35]
	v_add_u32_e32 v6, 2, v6
	global_store_dwordx2 v[26:27], v[4:5], off
	s_andn2_b64 exec, exec, s[34:35]
	s_cbranch_execnz .LBB36_21
; %bb.22:                               ;   in Loop: Header=BB36_8 Depth=1
	s_or_b64 exec, exec, s[34:35]
	v_cmp_ne_u32_e32 vcc, v14, v24
	s_orn2_b64 s[34:35], vcc, exec
.LBB36_23:                              ;   in Loop: Header=BB36_8 Depth=1
	s_or_b64 exec, exec, s[26:27]
	s_andn2_b64 s[22:23], s[22:23], exec
	s_and_b64 s[26:27], s[34:35], exec
	s_or_b64 s[22:23], s[22:23], s[26:27]
.LBB36_24:                              ;   in Loop: Header=BB36_8 Depth=1
	s_or_b64 exec, exec, s[24:25]
	s_and_b64 exec, exec, s[22:23]
	s_cbranch_execz .LBB36_27
; %bb.25:                               ;   in Loop: Header=BB36_8 Depth=1
	v_add3_u32 v6, v13, v19, v20
	v_add3_u32 v6, v6, v22, v23
	;; [unrolled: 1-line block ×4, first 2 shown]
	v_sub_u32_e32 v5, v14, v24
	v_add3_u32 v6, v6, v18, v24
	s_mov_b64 s[22:23], 0
.LBB36_26:                              ;   Parent Loop BB36_8 Depth=1
                                        ; =>  This Inner Loop Header: Depth=2
	v_ashrrev_i32_e32 v7, 31, v6
	v_lshlrev_b64 v[14:15], 2, v[6:7]
	v_mov_b32_e32 v7, s51
	v_add_co_u32_e32 v14, vcc, s50, v14
	v_addc_co_u32_e32 v15, vcc, v7, v15, vcc
	v_add_u32_e32 v5, -1, v5
	v_cmp_eq_u32_e32 vcc, 0, v5
	s_or_b64 s[22:23], vcc, s[22:23]
	v_add_u32_e32 v6, 1, v6
	global_store_dword v[14:15], v4, off
	s_andn2_b64 exec, exec, s[22:23]
	s_cbranch_execnz .LBB36_26
.LBB36_27:                              ;   in Loop: Header=BB36_8 Depth=1
	s_or_b64 exec, exec, s[18:19]
	s_add_i32 s43, s43, 1
	s_cmp_eq_u32 s43, s56
	s_cbranch_scc1 .LBB36_30
; %bb.28:                               ;   in Loop: Header=BB36_8 Depth=1
	s_waitcnt lgkmcnt(0)
	v_mov_b32_e32 v13, v2
	s_branch .LBB36_8
.LBB36_29:
	v_mov_b32_e32 v2, 0
.LBB36_30:
	v_cmp_eq_u32_e32 vcc, 0, v0
	s_and_saveexec_b64 s[0:1], vcc
	s_cbranch_execz .LBB36_34
; %bb.31:
	s_cmp_lg_u32 s6, 0
	s_waitcnt lgkmcnt(0)
	v_mul_lo_u32 v2, v2, s28
	s_cbranch_scc1 .LBB36_33
; %bb.32:
	v_mov_b32_e32 v1, 0
	v_mov_b32_e32 v3, s33
	global_store_dwordx2 v1, v[2:3], s[48:49]
.LBB36_33:
	v_mov_b32_e32 v1, s42
	ds_write_b32 v1, v2
.LBB36_34:
	s_or_b64 exec, exec, s[0:1]
	s_cmp_eq_u64 s[58:59], 0
	s_cselect_b64 s[0:1], -1, 0
	s_cmp_lg_u32 s6, 0
	s_cselect_b64 s[2:3], -1, 0
	s_or_b64 s[0:1], s[2:3], s[0:1]
	s_and_b64 vcc, exec, s[0:1]
	s_waitcnt lgkmcnt(0)
	s_barrier
	s_cbranch_vccnz .LBB36_41
; %bb.35:
	s_mul_i32 s8, s33, s31
	v_cmp_gt_i32_e32 vcc, s8, v0
	s_and_saveexec_b64 s[2:3], vcc
	s_cbranch_execz .LBB36_40
; %bb.36:
	v_lshlrev_b32_e32 v1, 2, v0
	v_mov_b32_e32 v3, s37
	v_add_co_u32_e32 v2, vcc, s36, v1
	v_addc_co_u32_e32 v3, vcc, 0, v3, vcc
	v_mov_b32_e32 v5, s59
	v_add_co_u32_e32 v4, vcc, s58, v1
	s_add_i32 s42, s42, 4
	v_addc_co_u32_e32 v5, vcc, 0, v5, vcc
	s_mov_b64 s[4:5], 0
	v_mov_b32_e32 v1, v0
	s_branch .LBB36_38
.LBB36_37:                              ;   in Loop: Header=BB36_38 Depth=1
	s_or_b64 exec, exec, s[0:1]
	v_add_co_u32_e32 v2, vcc, 0x400, v2
	v_add_u32_e32 v1, 0x100, v1
	v_addc_co_u32_e32 v3, vcc, 0, v3, vcc
	s_waitcnt lgkmcnt(0)
	global_store_dword v[4:5], v7, off
	v_add_co_u32_e32 v4, vcc, 0x400, v4
	v_cmp_le_i32_e64 s[0:1], s8, v1
	s_or_b64 s[4:5], s[0:1], s[4:5]
	v_addc_co_u32_e32 v5, vcc, 0, v5, vcc
	s_andn2_b64 exec, exec, s[4:5]
	s_cbranch_execz .LBB36_40
.LBB36_38:                              ; =>This Inner Loop Header: Depth=1
	global_load_dword v6, v[2:3], off
	v_mov_b32_e32 v7, -1
	s_waitcnt vmcnt(0)
	v_cmp_lt_i32_e32 vcc, -1, v6
	v_cmp_gt_i32_e64 s[0:1], s7, v6
	s_and_b64 s[10:11], vcc, s[0:1]
	s_and_saveexec_b64 s[0:1], s[10:11]
	s_cbranch_execz .LBB36_37
; %bb.39:                               ;   in Loop: Header=BB36_38 Depth=1
	v_lshl_add_u32 v6, v6, 2, s42
	ds_read_b32 v7, v6
	s_branch .LBB36_37
.LBB36_40:
	s_or_b64 exec, exec, s[2:3]
.LBB36_41:
	s_lshl_b32 s0, s6, 2
	s_add_i32 s0, s0, 0
	v_mov_b32_e32 v1, s0
	ds_read2_b32 v[6:7], v1 offset0:12 offset1:13
	s_waitcnt lgkmcnt(0)
	v_cmp_eq_u32_e32 vcc, v6, v7
	s_cbranch_vccnz .LBB36_92
; %bb.42:
	s_ashr_i32 s7, s6, 31
	s_lshl_b64 s[0:1], s[6:7], 2
	s_add_u32 s0, s40, s0
	s_addc_u32 s1, s41, s1
	v_mov_b32_e32 v19, 0
	global_load_dword v1, v19, s[0:1]
	s_waitcnt vmcnt(0)
	v_cmp_eq_u32_e32 vcc, 0, v1
	s_cbranch_vccnz .LBB36_92
; %bb.43:
	s_cmp_lt_i32 s33, 1
	s_cbranch_scc1 .LBB36_84
; %bb.44:
	s_add_i32 s0, s33, 31
	s_lshr_b32 s0, s0, 5
	s_lshl_b32 s1, s0, 1
	s_addk_i32 s1, 0xff
	s_mul_i32 s0, s6, s0
	s_lshr_b32 s30, s1, 8
	s_add_i32 s1, s33, 15
	s_lshl_b32 s0, s0, 5
	s_lshr_b32 s58, s1, 4
	s_ashr_i32 s1, s0, 31
	v_mbcnt_lo_u32_b32 v2, -1, 0
	s_add_u32 s59, s44, s0
	v_mbcnt_hi_u32_b32 v2, -1, v2
	v_lshl_add_u32 v45, v8, 2, 0
	v_lshlrev_b32_e32 v8, 4, v0
	s_addc_u32 s60, s45, s1
	v_lshlrev_b32_e32 v3, 2, v2
	v_cmp_lt_u32_e32 vcc, 15, v2
	v_cmp_lt_u32_e64 s[0:1], 31, v2
	v_or_b32_e32 v2, 15, v8
	v_cmp_eq_u32_e64 s[2:3], 63, v10
	v_mad_u64_u32 v[10:11], s[12:13], s31, v2, -1
	v_or_b32_e32 v2, 14, v8
	v_mad_u64_u32 v[14:15], s[12:13], s31, v2, -1
	v_or_b32_e32 v2, 13, v8
	;; [unrolled: 2-line block ×13, first 2 shown]
	v_mad_u64_u32 v[38:39], s[12:13], s31, v2, -1
	v_mul_lo_u32 v2, s31, v8
	s_movk_i32 s10, 0xff
	v_and_b32_e32 v3, 0xc0, v3
	s_movk_i32 s6, 0x7f
	s_movk_i32 s8, 0xbf
	v_add3_u32 v11, v2, s31, -1
	v_mul_lo_u32 v2, v0, s31
	s_mov_b32 s61, 0
	v_mov_b32_e32 v1, 0
	v_add_u32_e32 v9, -4, v3
	v_add_u32_e32 v44, 0xffffffbc, v3
	v_cmp_gt_u32_e64 s[4:5], 64, v0
	v_cmp_lt_u32_e64 s[6:7], s6, v0
	v_cmp_lt_u32_e64 s[8:9], s8, v0
	v_cmp_eq_u32_e64 s[10:11], s10, v0
	s_lshl_b32 s62, s31, 12
	v_mov_b32_e32 v13, 0
	v_lshl_add_u32 v15, v2, 4, -1
	s_mov_b64 s[34:35], 0
	s_mov_b32 s63, 0xffff
	s_mov_b32 s64, 0x4020100
	v_mov_b32_e32 v17, v0
	v_mov_b32_e32 v19, 0
	s_branch .LBB36_46
.LBB36_45:                              ;   in Loop: Header=BB36_46 Depth=1
	s_or_b64 exec, exec, s[14:15]
	s_add_i32 s61, s61, s62
	s_add_u32 s34, s34, 0x1000
	s_addc_u32 s35, s35, 0
	s_add_i32 s30, s30, -1
	s_add_u32 s59, s59, 0x1000
	s_addc_u32 s60, s60, 0
	s_cmp_eq_u32 s30, 0
	v_add_u32_e32 v17, 0x100, v17
	s_cbranch_scc1 .LBB36_84
.LBB36_46:                              ; =>This Inner Loop Header: Depth=1
	v_cmp_gt_u32_e64 s[12:13], s58, v17
	v_mov_b32_e32 v2, 0
	v_mov_b32_e32 v3, 0
	;; [unrolled: 1-line block ×4, first 2 shown]
	s_and_saveexec_b64 s[14:15], s[12:13]
	s_cbranch_execz .LBB36_48
; %bb.47:                               ;   in Loop: Header=BB36_46 Depth=1
	v_mov_b32_e32 v3, s60
	v_add_co_u32_e64 v2, s[12:13], s59, v8
	v_addc_co_u32_e64 v3, s[12:13], 0, v3, s[12:13]
	global_load_dwordx4 v[2:5], v[2:3], off
.LBB36_48:                              ;   in Loop: Header=BB36_46 Depth=1
	s_or_b64 exec, exec, s[14:15]
	s_waitcnt vmcnt(0)
	v_lshrrev_b32_e32 v53, 8, v2
	v_cmp_ne_u16_sdwa s[56:57], v53, v1 src0_sel:BYTE_0 src1_sel:DWORD
	v_lshrrev_b32_e32 v51, 16, v2
	v_lshrrev_b64 v[42:43], 24, v[2:3]
	v_cndmask_b32_e64 v25, 0, 1, s[56:57]
	v_cmp_ne_u16_sdwa s[26:27], v2, v1 src0_sel:BYTE_0 src1_sel:DWORD
	v_cmp_ne_u16_sdwa s[50:51], v51, v1 src0_sel:BYTE_0 src1_sel:DWORD
	v_and_b32_e32 v50, 0xff, v42
	v_lshrrev_b32_e32 v46, 16, v3
	v_lshrrev_b32_e32 v47, 8, v3
	v_addc_co_u32_e64 v25, s[12:13], 0, v25, s[26:27]
	v_cndmask_b32_e64 v27, 0, 1, s[50:51]
	v_cmp_ne_u16_e64 s[24:25], 0, v50
	v_cmp_ne_u16_sdwa s[48:49], v3, v1 src0_sel:BYTE_0 src1_sel:DWORD
	v_addc_co_u32_e64 v25, s[12:13], v25, v27, s[24:25]
	v_cndmask_b32_e64 v27, 0, 1, s[48:49]
	v_cmp_ne_u16_sdwa s[22:23], v47, v1 src0_sel:BYTE_0 src1_sel:DWORD
	v_cmp_ne_u16_sdwa s[46:47], v46, v1 src0_sel:BYTE_0 src1_sel:DWORD
	v_addc_co_u32_e64 v25, s[12:13], v25, v27, s[22:23]
	v_cndmask_b32_e64 v27, 0, 1, s[46:47]
	v_cmp_ne_u16_sdwa s[20:21], v3, v1 src0_sel:BYTE_3 src1_sel:DWORD
	v_cmp_ne_u16_sdwa s[44:45], v4, v1 src0_sel:BYTE_0 src1_sel:DWORD
	v_lshrrev_b32_e32 v37, 8, v4
	v_lshrrev_b32_e32 v33, 16, v4
	v_lshrrev_b64 v[40:41], 24, v[4:5]
	v_addc_co_u32_e64 v25, s[12:13], v25, v27, s[20:21]
	v_cndmask_b32_e64 v27, 0, 1, s[44:45]
	v_cmp_ne_u16_sdwa s[18:19], v37, v1 src0_sel:BYTE_0 src1_sel:DWORD
	v_cmp_ne_u16_sdwa s[42:43], v33, v1 src0_sel:BYTE_0 src1_sel:DWORD
	v_and_b32_e32 v31, 0xff, v40
	v_lshrrev_b32_e32 v23, 8, v5
	v_addc_co_u32_e64 v25, s[12:13], v25, v27, s[18:19]
	v_cndmask_b32_e64 v27, 0, 1, s[42:43]
	v_cmp_ne_u16_e64 s[16:17], 0, v31
	v_cmp_ne_u16_sdwa s[40:41], v5, v1 src0_sel:BYTE_0 src1_sel:DWORD
	v_lshrrev_b32_e32 v21, 16, v5
	v_addc_co_u32_e64 v25, s[12:13], v25, v27, s[16:17]
	v_cndmask_b32_e64 v27, 0, 1, s[40:41]
	v_cmp_ne_u16_sdwa s[14:15], v23, v1 src0_sel:BYTE_0 src1_sel:DWORD
	v_addc_co_u32_e64 v25, s[12:13], v25, v27, s[14:15]
	v_cmp_ne_u16_sdwa s[36:37], v21, v1 src0_sel:BYTE_0 src1_sel:DWORD
	v_cndmask_b32_e64 v27, 0, 1, s[36:37]
	v_cmp_ne_u16_sdwa s[12:13], v5, v1 src0_sel:BYTE_3 src1_sel:DWORD
	v_addc_co_u32_e64 v55, s[28:29], v25, v27, s[12:13]
	v_and_b32_e32 v12, 0xff, v2
	s_nop 0
	v_add_u32_dpp v25, v55, v55 row_shr:1 row_mask:0xf bank_mask:0xf bound_ctrl:1
	v_and_b32_e32 v54, 0xff, v53
	v_and_b32_e32 v52, 0xff, v51
	v_add_u32_dpp v25, v25, v25 row_shr:2 row_mask:0xf bank_mask:0xf bound_ctrl:1
	v_and_b32_e32 v49, 0xff, v3
	v_and_b32_e32 v48, 0xff, v47
	;; [unrolled: 3-line block ×3, first 2 shown]
	v_add_u32_dpp v25, v25, v25 row_shr:8 row_mask:0xf bank_mask:0xf bound_ctrl:1
	ds_bpermute_b32 v27, v9, v25
	v_and_b32_e32 v39, 0xff, v37
	v_and_b32_e32 v35, 0xff, v33
	;; [unrolled: 1-line block ×3, first 2 shown]
	s_waitcnt lgkmcnt(0)
	v_cndmask_b32_e32 v27, 0, v27, vcc
	v_add_u32_e32 v56, v25, v27
	ds_bpermute_b32 v57, v44, v56
	v_and_b32_e32 v27, 0xff, v23
	v_and_b32_e32 v25, 0xff, v21
	s_barrier
	s_waitcnt lgkmcnt(0)
	v_cndmask_b32_e64 v57, 0, v57, s[0:1]
	v_add_u32_e32 v56, v56, v57
	s_and_saveexec_b64 s[28:29], s[2:3]
	s_cbranch_execz .LBB36_50
; %bb.49:                               ;   in Loop: Header=BB36_46 Depth=1
	ds_write_b32 v45, v56 offset:16
.LBB36_50:                              ;   in Loop: Header=BB36_46 Depth=1
	s_or_b64 exec, exec, s[28:29]
	s_waitcnt lgkmcnt(0)
	s_barrier
	ds_read2_b32 v[58:59], v1 offset0:4 offset1:5
	ds_read_b32 v57, v1 offset:24
	s_waitcnt lgkmcnt(1)
	v_cndmask_b32_e64 v58, v58, 0, s[4:5]
	v_cndmask_b32_e64 v59, 0, v59, s[6:7]
	s_waitcnt lgkmcnt(0)
	v_cndmask_b32_e64 v57, 0, v57, s[8:9]
	v_add3_u32 v19, v56, v19, v58
	v_add3_u32 v56, v19, v59, v57
	s_and_saveexec_b64 s[28:29], s[10:11]
	s_cbranch_execz .LBB36_52
; %bb.51:                               ;   in Loop: Header=BB36_46 Depth=1
	ds_write_b32 v1, v56
.LBB36_52:                              ;   in Loop: Header=BB36_46 Depth=1
	s_or_b64 exec, exec, s[28:29]
	s_waitcnt lgkmcnt(0)
	s_barrier
	ds_read_b32 v19, v1
	v_sub_u32_e32 v56, v56, v55
	v_mov_b32_e32 v55, 0
	v_mov_b32_e32 v57, 0
	s_and_saveexec_b64 s[28:29], s[26:27]
	s_cbranch_execz .LBB36_54
; %bb.53:                               ;   in Loop: Header=BB36_46 Depth=1
	v_add3_u32 v12, v15, s61, v12
	v_lshlrev_b64 v[58:59], 2, v[12:13]
	v_mov_b32_e32 v12, s39
	v_add_co_u32_e64 v58, s[26:27], s38, v58
	v_addc_co_u32_e64 v59, s[26:27], v12, v59, s[26:27]
	global_load_dword v12, v[58:59], off
	v_add_u32_e32 v58, v56, v6
	v_ashrrev_i32_e32 v59, 31, v58
	v_add_u32_e32 v57, s34, v8
	v_lshlrev_b64 v[58:59], 2, v[58:59]
	v_mov_b32_e32 v61, s53
	v_and_b32_e32 v57, 0xfffff0, v57
	v_add_co_u32_e64 v60, s[26:27], s52, v58
	v_lshl_or_b32 v2, v2, 24, v57
	v_addc_co_u32_e64 v61, s[26:27], v61, v59, s[26:27]
	v_mov_b32_e32 v62, s55
	v_add_u32_e32 v2, 0xff000000, v2
	v_add_co_u32_e64 v58, s[26:27], s54, v58
	v_mov_b32_e32 v57, 1
	v_addc_co_u32_e64 v59, s[26:27], v62, v59, s[26:27]
	global_store_dword v[60:61], v2, off
	s_waitcnt vmcnt(1)
	global_store_dword v[58:59], v12, off
.LBB36_54:                              ;   in Loop: Header=BB36_46 Depth=1
	s_or_b64 exec, exec, s[28:29]
	v_add_u32_e32 v2, v57, v56
	s_and_saveexec_b64 s[28:29], s[56:57]
	s_cbranch_execz .LBB36_56
; %bb.55:                               ;   in Loop: Header=BB36_46 Depth=1
	v_add3_u32 v12, v11, s61, v54
	v_lshlrev_b64 v[54:55], 2, v[12:13]
	v_mov_b32_e32 v12, s39
	v_add_co_u32_e64 v54, s[26:27], s38, v54
	v_addc_co_u32_e64 v55, s[26:27], v12, v55, s[26:27]
	global_load_dword v12, v[54:55], off
	v_add_u32_e32 v56, v2, v6
	v_add3_u32 v54, v8, s34, 1
	v_ashrrev_i32_e32 v57, 31, v56
	v_and_b32_e32 v54, 0xfffff1, v54
	v_lshlrev_b64 v[56:57], 2, v[56:57]
	v_lshl_or_b32 v53, v53, 24, v54
	v_mov_b32_e32 v54, s53
	v_add_co_u32_e64 v58, s[26:27], s52, v56
	v_add_u32_e32 v53, 0xff000000, v53
	v_addc_co_u32_e64 v59, s[26:27], v54, v57, s[26:27]
	global_store_dword v[58:59], v53, off
	v_mov_b32_e32 v53, s55
	v_add_co_u32_e64 v56, s[26:27], s54, v56
	v_mov_b32_e32 v55, 1
	v_addc_co_u32_e64 v57, s[26:27], v53, v57, s[26:27]
	s_waitcnt vmcnt(1)
	global_store_dword v[56:57], v12, off
.LBB36_56:                              ;   in Loop: Header=BB36_46 Depth=1
	s_or_b64 exec, exec, s[28:29]
	v_add_u32_e32 v53, v55, v2
	v_mov_b32_e32 v2, 0
	v_mov_b32_e32 v12, 0
	s_and_saveexec_b64 s[28:29], s[50:51]
	s_cbranch_execz .LBB36_58
; %bb.57:                               ;   in Loop: Header=BB36_46 Depth=1
	v_add3_u32 v12, v38, s61, v52
	v_lshlrev_b64 v[54:55], 2, v[12:13]
	v_mov_b32_e32 v12, s39
	v_add_co_u32_e64 v54, s[26:27], s38, v54
	v_addc_co_u32_e64 v55, s[26:27], v12, v55, s[26:27]
	global_load_dword v12, v[54:55], off
	v_add_u32_e32 v54, v53, v6
	v_ashrrev_i32_e32 v55, 31, v54
	v_add3_u32 v52, v8, s34, 2
	v_lshlrev_b64 v[54:55], 2, v[54:55]
	v_mov_b32_e32 v57, s53
	v_and_b32_e32 v52, 0xfffff2, v52
	v_add_co_u32_e64 v56, s[26:27], s52, v54
	v_lshl_or_b32 v51, v51, 24, v52
	v_addc_co_u32_e64 v57, s[26:27], v57, v55, s[26:27]
	v_mov_b32_e32 v58, s55
	v_add_u32_e32 v51, 0xff000000, v51
	v_add_co_u32_e64 v54, s[26:27], s54, v54
	v_addc_co_u32_e64 v55, s[26:27], v58, v55, s[26:27]
	global_store_dword v[56:57], v51, off
	s_waitcnt vmcnt(1)
	global_store_dword v[54:55], v12, off
	v_mov_b32_e32 v12, 1
.LBB36_58:                              ;   in Loop: Header=BB36_46 Depth=1
	s_or_b64 exec, exec, s[28:29]
	v_add_u32_e32 v51, v12, v53
	s_and_saveexec_b64 s[26:27], s[24:25]
	s_cbranch_execz .LBB36_60
; %bb.59:                               ;   in Loop: Header=BB36_46 Depth=1
	v_add3_u32 v12, v36, s61, v50
	v_lshlrev_b64 v[52:53], 2, v[12:13]
	v_mov_b32_e32 v2, s39
	v_add_co_u32_e64 v52, s[24:25], s38, v52
	v_addc_co_u32_e64 v53, s[24:25], v2, v53, s[24:25]
	global_load_dword v2, v[52:53], off
	v_add_u32_e32 v52, v51, v6
	v_ashrrev_i32_e32 v53, 31, v52
	v_add3_u32 v12, v8, s34, 3
	v_lshlrev_b64 v[52:53], 2, v[52:53]
	v_mov_b32_e32 v50, s53
	v_and_b32_e32 v12, 0xfffff3, v12
	v_add_co_u32_e64 v54, s[24:25], s52, v52
	v_lshl_or_b32 v12, v42, 24, v12
	v_addc_co_u32_e64 v55, s[24:25], v50, v53, s[24:25]
	v_mov_b32_e32 v56, s55
	v_add_u32_e32 v12, 0xff000000, v12
	v_add_co_u32_e64 v52, s[24:25], s54, v52
	v_addc_co_u32_e64 v53, s[24:25], v56, v53, s[24:25]
	global_store_dword v[54:55], v12, off
	s_waitcnt vmcnt(1)
	global_store_dword v[52:53], v2, off
	v_mov_b32_e32 v2, 1
.LBB36_60:                              ;   in Loop: Header=BB36_46 Depth=1
	s_or_b64 exec, exec, s[26:27]
	v_add_u32_e32 v42, v2, v51
	v_mov_b32_e32 v2, 0
	v_mov_b32_e32 v12, 0
	s_and_saveexec_b64 s[26:27], s[48:49]
	s_cbranch_execz .LBB36_62
; %bb.61:                               ;   in Loop: Header=BB36_46 Depth=1
	v_add3_u32 v12, v34, s61, v49
	v_lshlrev_b64 v[50:51], 2, v[12:13]
	v_mov_b32_e32 v12, s39
	v_add_co_u32_e64 v50, s[24:25], s38, v50
	v_addc_co_u32_e64 v51, s[24:25], v12, v51, s[24:25]
	global_load_dword v12, v[50:51], off
	v_add_u32_e32 v50, v42, v6
	v_ashrrev_i32_e32 v51, 31, v50
	v_add3_u32 v49, v8, s34, 4
	v_lshlrev_b64 v[50:51], 2, v[50:51]
	v_mov_b32_e32 v53, s53
	v_and_b32_e32 v49, 0xfffff4, v49
	v_add_co_u32_e64 v52, s[24:25], s52, v50
	v_lshl_or_b32 v49, v3, 24, v49
	v_addc_co_u32_e64 v53, s[24:25], v53, v51, s[24:25]
	v_mov_b32_e32 v54, s55
	v_add_u32_e32 v49, 0xff000000, v49
	v_add_co_u32_e64 v50, s[24:25], s54, v50
	v_addc_co_u32_e64 v51, s[24:25], v54, v51, s[24:25]
	global_store_dword v[52:53], v49, off
	s_waitcnt vmcnt(1)
	global_store_dword v[50:51], v12, off
	v_mov_b32_e32 v12, 1
.LBB36_62:                              ;   in Loop: Header=BB36_46 Depth=1
	s_or_b64 exec, exec, s[26:27]
	v_add_u32_e32 v42, v12, v42
	s_and_saveexec_b64 s[24:25], s[22:23]
	s_cbranch_execz .LBB36_64
; %bb.63:                               ;   in Loop: Header=BB36_46 Depth=1
	v_add3_u32 v12, v32, s61, v48
	v_lshlrev_b64 v[48:49], 2, v[12:13]
	v_mov_b32_e32 v2, s39
	v_add_co_u32_e64 v48, s[22:23], s38, v48
	v_addc_co_u32_e64 v49, s[22:23], v2, v49, s[22:23]
	global_load_dword v2, v[48:49], off
	v_add_u32_e32 v48, v42, v6
	v_ashrrev_i32_e32 v49, 31, v48
	v_add3_u32 v12, v8, s34, 5
	v_lshlrev_b64 v[48:49], 2, v[48:49]
	v_mov_b32_e32 v51, s53
	v_and_b32_e32 v12, 0xfffff5, v12
	v_add_co_u32_e64 v50, s[22:23], s52, v48
	v_lshl_or_b32 v12, v47, 24, v12
	v_addc_co_u32_e64 v51, s[22:23], v51, v49, s[22:23]
	v_mov_b32_e32 v52, s55
	v_add_u32_e32 v12, 0xff000000, v12
	v_add_co_u32_e64 v48, s[22:23], s54, v48
	v_addc_co_u32_e64 v49, s[22:23], v52, v49, s[22:23]
	global_store_dword v[50:51], v12, off
	s_waitcnt vmcnt(1)
	global_store_dword v[48:49], v2, off
	v_mov_b32_e32 v2, 1
.LBB36_64:                              ;   in Loop: Header=BB36_46 Depth=1
	s_or_b64 exec, exec, s[24:25]
	v_add_u32_e32 v42, v2, v42
	v_mov_b32_e32 v2, 0
	v_mov_b32_e32 v12, 0
	s_and_saveexec_b64 s[24:25], s[46:47]
	s_cbranch_execz .LBB36_66
; %bb.65:                               ;   in Loop: Header=BB36_46 Depth=1
	v_add3_u32 v12, v30, s61, v43
	v_lshlrev_b64 v[48:49], 2, v[12:13]
	v_mov_b32_e32 v12, s39
	v_add_co_u32_e64 v48, s[22:23], s38, v48
	v_addc_co_u32_e64 v49, s[22:23], v12, v49, s[22:23]
	global_load_dword v12, v[48:49], off
	v_add3_u32 v43, v8, s34, 6
	v_add_u32_e32 v48, v42, v6
	v_and_b32_e32 v43, 0xfffff6, v43
	v_ashrrev_i32_e32 v49, 31, v48
	v_lshl_or_b32 v43, v46, 24, v43
	v_lshlrev_b64 v[46:47], 2, v[48:49]
	v_mov_b32_e32 v50, s53
	v_add_co_u32_e64 v48, s[22:23], s52, v46
	v_addc_co_u32_e64 v49, s[22:23], v50, v47, s[22:23]
	v_mov_b32_e32 v51, s55
	v_add_u32_e32 v43, 0xff000000, v43
	v_add_co_u32_e64 v46, s[22:23], s54, v46
	v_addc_co_u32_e64 v47, s[22:23], v51, v47, s[22:23]
	global_store_dword v[48:49], v43, off
	s_waitcnt vmcnt(1)
	global_store_dword v[46:47], v12, off
	v_mov_b32_e32 v12, 1
.LBB36_66:                              ;   in Loop: Header=BB36_46 Depth=1
	s_or_b64 exec, exec, s[24:25]
	v_add_u32_e32 v42, v12, v42
	s_and_saveexec_b64 s[22:23], s[20:21]
	s_cbranch_execz .LBB36_68
; %bb.67:                               ;   in Loop: Header=BB36_46 Depth=1
	v_and_b32_sdwa v43, s63, v3 dst_sel:DWORD dst_unused:UNUSED_PAD src0_sel:DWORD src1_sel:BYTE_3
	v_add3_u32 v12, v28, s61, v43
	v_lshlrev_b64 v[2:3], 2, v[12:13]
	v_mov_b32_e32 v12, s39
	v_add_co_u32_e64 v2, s[20:21], s38, v2
	v_addc_co_u32_e64 v3, s[20:21], v12, v3, s[20:21]
	global_load_dword v12, v[2:3], off
	v_add3_u32 v3, v8, s34, 7
	v_add_u32_e32 v2, v42, v6
	v_and_b32_e32 v46, 0xfffff7, v3
	v_ashrrev_i32_e32 v3, 31, v2
	v_lshlrev_b64 v[2:3], 2, v[2:3]
	v_mov_b32_e32 v47, s53
	v_lshl_or_b32 v43, v43, 24, v46
	v_add_co_u32_e64 v46, s[20:21], s52, v2
	v_addc_co_u32_e64 v47, s[20:21], v47, v3, s[20:21]
	v_mov_b32_e32 v48, s55
	v_add_u32_e32 v43, 0xff000000, v43
	v_add_co_u32_e64 v2, s[20:21], s54, v2
	v_addc_co_u32_e64 v3, s[20:21], v48, v3, s[20:21]
	global_store_dword v[46:47], v43, off
	s_waitcnt vmcnt(1)
	global_store_dword v[2:3], v12, off
	v_mov_b32_e32 v2, 1
.LBB36_68:                              ;   in Loop: Header=BB36_46 Depth=1
	s_or_b64 exec, exec, s[22:23]
	v_add_u32_e32 v3, v2, v42
	v_mov_b32_e32 v2, 0
	v_mov_b32_e32 v12, 0
	s_and_saveexec_b64 s[22:23], s[44:45]
	s_cbranch_execz .LBB36_70
; %bb.69:                               ;   in Loop: Header=BB36_46 Depth=1
	v_add3_u32 v12, v26, s61, v41
	v_lshlrev_b64 v[42:43], 2, v[12:13]
	v_mov_b32_e32 v12, s39
	v_add_co_u32_e64 v42, s[20:21], s38, v42
	v_addc_co_u32_e64 v43, s[20:21], v12, v43, s[20:21]
	global_load_dword v12, v[42:43], off
	v_add_u32_e32 v42, v3, v6
	v_ashrrev_i32_e32 v43, 31, v42
	v_add3_u32 v41, v8, s34, 8
	v_lshlrev_b64 v[42:43], 2, v[42:43]
	v_mov_b32_e32 v47, s53
	v_and_b32_e32 v41, 0xfffff8, v41
	v_add_co_u32_e64 v46, s[20:21], s52, v42
	v_lshl_or_b32 v4, v4, 24, v41
	v_addc_co_u32_e64 v47, s[20:21], v47, v43, s[20:21]
	v_mov_b32_e32 v48, s55
	v_add_u32_e32 v4, 0xff000000, v4
	v_add_co_u32_e64 v42, s[20:21], s54, v42
	v_addc_co_u32_e64 v43, s[20:21], v48, v43, s[20:21]
	global_store_dword v[46:47], v4, off
	s_waitcnt vmcnt(1)
	global_store_dword v[42:43], v12, off
	v_mov_b32_e32 v12, 1
.LBB36_70:                              ;   in Loop: Header=BB36_46 Depth=1
	s_or_b64 exec, exec, s[22:23]
	v_add_u32_e32 v3, v12, v3
	s_and_saveexec_b64 s[20:21], s[18:19]
	s_cbranch_execz .LBB36_72
; %bb.71:                               ;   in Loop: Header=BB36_46 Depth=1
	v_add3_u32 v12, v24, s61, v39
	v_lshlrev_b64 v[42:43], 2, v[12:13]
	v_mov_b32_e32 v2, s39
	v_add_co_u32_e64 v42, s[18:19], s38, v42
	v_addc_co_u32_e64 v43, s[18:19], v2, v43, s[18:19]
	global_load_dword v2, v[42:43], off
	v_add_u32_e32 v42, v3, v6
	v_ashrrev_i32_e32 v43, 31, v42
	v_add3_u32 v4, v8, s34, 9
	v_lshlrev_b64 v[42:43], 2, v[42:43]
	v_mov_b32_e32 v12, s53
	v_and_b32_e32 v4, 0xfffff9, v4
	v_add_co_u32_e64 v46, s[18:19], s52, v42
	v_lshl_or_b32 v4, v37, 24, v4
	v_addc_co_u32_e64 v47, s[18:19], v12, v43, s[18:19]
	v_mov_b32_e32 v39, s55
	v_add_u32_e32 v4, 0xff000000, v4
	v_add_co_u32_e64 v42, s[18:19], s54, v42
	v_addc_co_u32_e64 v43, s[18:19], v39, v43, s[18:19]
	global_store_dword v[46:47], v4, off
	s_waitcnt vmcnt(1)
	global_store_dword v[42:43], v2, off
	v_mov_b32_e32 v2, 1
.LBB36_72:                              ;   in Loop: Header=BB36_46 Depth=1
	s_or_b64 exec, exec, s[20:21]
	v_add_u32_e32 v3, v2, v3
	v_mov_b32_e32 v2, 0
	v_mov_b32_e32 v4, 0
	s_and_saveexec_b64 s[20:21], s[42:43]
	s_cbranch_execz .LBB36_74
; %bb.73:                               ;   in Loop: Header=BB36_46 Depth=1
	v_add3_u32 v12, v22, s61, v35
	v_lshlrev_b64 v[42:43], 2, v[12:13]
	v_mov_b32_e32 v4, s39
	v_add_co_u32_e64 v42, s[18:19], s38, v42
	v_addc_co_u32_e64 v43, s[18:19], v4, v43, s[18:19]
	global_load_dword v4, v[42:43], off
	v_add_u32_e32 v42, v3, v6
	v_ashrrev_i32_e32 v43, 31, v42
	v_add3_u32 v12, v8, s34, 10
	v_lshlrev_b64 v[42:43], 2, v[42:43]
	v_mov_b32_e32 v35, s53
	v_and_b32_e32 v12, 0xfffffa, v12
	v_add_co_u32_e64 v46, s[18:19], s52, v42
	v_lshl_or_b32 v12, v33, 24, v12
	v_addc_co_u32_e64 v47, s[18:19], v35, v43, s[18:19]
	v_mov_b32_e32 v37, s55
	v_add_u32_e32 v12, 0xff000000, v12
	v_add_co_u32_e64 v42, s[18:19], s54, v42
	v_addc_co_u32_e64 v43, s[18:19], v37, v43, s[18:19]
	global_store_dword v[46:47], v12, off
	s_waitcnt vmcnt(1)
	global_store_dword v[42:43], v4, off
	v_mov_b32_e32 v4, 1
.LBB36_74:                              ;   in Loop: Header=BB36_46 Depth=1
	s_or_b64 exec, exec, s[20:21]
	v_add_u32_e32 v3, v4, v3
	s_and_saveexec_b64 s[18:19], s[16:17]
	s_cbranch_execz .LBB36_76
; %bb.75:                               ;   in Loop: Header=BB36_46 Depth=1
	v_add3_u32 v12, v20, s61, v31
	v_lshlrev_b64 v[42:43], 2, v[12:13]
	v_mov_b32_e32 v2, s39
	v_add_co_u32_e64 v42, s[16:17], s38, v42
	v_addc_co_u32_e64 v43, s[16:17], v2, v43, s[16:17]
	global_load_dword v2, v[42:43], off
	v_add3_u32 v4, v8, s34, 11
	v_add_u32_e32 v42, v3, v6
	v_and_b32_e32 v4, 0xfffffb, v4
	v_ashrrev_i32_e32 v43, 31, v42
	v_lshl_or_b32 v4, v40, 24, v4
	v_lshlrev_b64 v[40:41], 2, v[42:43]
	v_mov_b32_e32 v12, s53
	v_add_co_u32_e64 v42, s[16:17], s52, v40
	v_addc_co_u32_e64 v43, s[16:17], v12, v41, s[16:17]
	v_mov_b32_e32 v31, s55
	v_add_u32_e32 v4, 0xff000000, v4
	v_add_co_u32_e64 v40, s[16:17], s54, v40
	v_addc_co_u32_e64 v41, s[16:17], v31, v41, s[16:17]
	global_store_dword v[42:43], v4, off
	s_waitcnt vmcnt(1)
	global_store_dword v[40:41], v2, off
	v_mov_b32_e32 v2, 1
.LBB36_76:                              ;   in Loop: Header=BB36_46 Depth=1
	s_or_b64 exec, exec, s[18:19]
	v_add_u32_e32 v3, v2, v3
	v_mov_b32_e32 v2, 0
	v_mov_b32_e32 v4, 0
	s_and_saveexec_b64 s[18:19], s[40:41]
	s_cbranch_execz .LBB36_78
; %bb.77:                               ;   in Loop: Header=BB36_46 Depth=1
	v_add3_u32 v12, v18, s61, v29
	v_lshlrev_b64 v[40:41], 2, v[12:13]
	v_mov_b32_e32 v4, s39
	v_add_co_u32_e64 v40, s[16:17], s38, v40
	v_addc_co_u32_e64 v41, s[16:17], v4, v41, s[16:17]
	global_load_dword v4, v[40:41], off
	v_add_u32_e32 v40, v3, v6
	v_ashrrev_i32_e32 v41, 31, v40
	v_add3_u32 v12, v8, s34, 12
	v_lshlrev_b64 v[40:41], 2, v[40:41]
	v_mov_b32_e32 v29, s53
	v_and_b32_e32 v12, 0xfffffc, v12
	v_add_co_u32_e64 v42, s[16:17], s52, v40
	v_lshl_or_b32 v12, v5, 24, v12
	v_addc_co_u32_e64 v43, s[16:17], v29, v41, s[16:17]
	v_mov_b32_e32 v31, s55
	v_add_u32_e32 v12, 0xff000000, v12
	v_add_co_u32_e64 v40, s[16:17], s54, v40
	v_addc_co_u32_e64 v41, s[16:17], v31, v41, s[16:17]
	global_store_dword v[42:43], v12, off
	s_waitcnt vmcnt(1)
	global_store_dword v[40:41], v4, off
	v_mov_b32_e32 v4, 1
.LBB36_78:                              ;   in Loop: Header=BB36_46 Depth=1
	s_or_b64 exec, exec, s[18:19]
	v_add_u32_e32 v3, v4, v3
	s_and_saveexec_b64 s[16:17], s[14:15]
	s_cbranch_execz .LBB36_80
; %bb.79:                               ;   in Loop: Header=BB36_46 Depth=1
	v_add3_u32 v12, v16, s61, v27
	v_lshlrev_b64 v[40:41], 2, v[12:13]
	v_mov_b32_e32 v2, s39
	v_add_co_u32_e64 v40, s[14:15], s38, v40
	v_addc_co_u32_e64 v41, s[14:15], v2, v41, s[14:15]
	global_load_dword v2, v[40:41], off
	v_add_u32_e32 v40, v3, v6
	v_ashrrev_i32_e32 v41, 31, v40
	v_add3_u32 v4, v8, s34, 13
	v_lshlrev_b64 v[40:41], 2, v[40:41]
	v_mov_b32_e32 v12, s53
	v_and_b32_e32 v4, 0xfffffd, v4
	v_add_co_u32_e64 v42, s[14:15], s52, v40
	v_lshl_or_b32 v4, v23, 24, v4
	v_addc_co_u32_e64 v43, s[14:15], v12, v41, s[14:15]
	v_mov_b32_e32 v27, s55
	v_add_u32_e32 v4, 0xff000000, v4
	v_add_co_u32_e64 v40, s[14:15], s54, v40
	v_addc_co_u32_e64 v41, s[14:15], v27, v41, s[14:15]
	global_store_dword v[42:43], v4, off
	s_waitcnt vmcnt(1)
	global_store_dword v[40:41], v2, off
	v_mov_b32_e32 v2, 1
.LBB36_80:                              ;   in Loop: Header=BB36_46 Depth=1
	s_or_b64 exec, exec, s[16:17]
	v_add_u32_e32 v2, v2, v3
	v_mov_b32_e32 v3, 0
	s_and_saveexec_b64 s[16:17], s[36:37]
	s_cbranch_execz .LBB36_82
; %bb.81:                               ;   in Loop: Header=BB36_46 Depth=1
	v_add3_u32 v12, v14, s61, v25
	v_lshlrev_b64 v[40:41], 2, v[12:13]
	v_mov_b32_e32 v3, s39
	v_add_co_u32_e64 v40, s[14:15], s38, v40
	v_addc_co_u32_e64 v41, s[14:15], v3, v41, s[14:15]
	global_load_dword v3, v[40:41], off
	v_add_u32_e32 v40, v2, v6
	v_ashrrev_i32_e32 v41, 31, v40
	v_add3_u32 v4, v8, s34, 14
	v_lshlrev_b64 v[40:41], 2, v[40:41]
	v_mov_b32_e32 v12, s53
	v_and_b32_e32 v4, 0xfffffe, v4
	v_add_co_u32_e64 v42, s[14:15], s52, v40
	v_lshl_or_b32 v4, v21, 24, v4
	v_addc_co_u32_e64 v43, s[14:15], v12, v41, s[14:15]
	v_mov_b32_e32 v23, s55
	v_add_u32_e32 v4, 0xff000000, v4
	v_add_co_u32_e64 v40, s[14:15], s54, v40
	v_addc_co_u32_e64 v41, s[14:15], v23, v41, s[14:15]
	global_store_dword v[42:43], v4, off
	s_waitcnt vmcnt(1)
	global_store_dword v[40:41], v3, off
	v_mov_b32_e32 v3, 1
.LBB36_82:                              ;   in Loop: Header=BB36_46 Depth=1
	s_or_b64 exec, exec, s[16:17]
	s_and_saveexec_b64 s[14:15], s[12:13]
	s_cbranch_execz .LBB36_45
; %bb.83:                               ;   in Loop: Header=BB36_46 Depth=1
	v_and_b32_sdwa v21, s63, v5 dst_sel:DWORD dst_unused:UNUSED_PAD src0_sel:DWORD src1_sel:BYTE_3
	v_add3_u32 v12, v10, s61, v21
	v_lshlrev_b64 v[4:5], 2, v[12:13]
	v_mov_b32_e32 v12, s39
	v_add_co_u32_e64 v4, s[12:13], s38, v4
	v_addc_co_u32_e64 v5, s[12:13], v12, v5, s[12:13]
	global_load_dword v12, v[4:5], off
	v_add3_u32 v2, v2, v6, v3
	v_ashrrev_i32_e32 v3, 31, v2
	v_add_u32_e32 v4, -1, v21
	v_add3_u32 v5, v8, s34, 15
	v_lshlrev_b64 v[2:3], 2, v[2:3]
	v_perm_b32 v21, v4, v5, s64
	v_mov_b32_e32 v5, s53
	v_add_co_u32_e64 v4, s[12:13], s52, v2
	v_addc_co_u32_e64 v5, s[12:13], v5, v3, s[12:13]
	global_store_dword v[4:5], v21, off
	v_mov_b32_e32 v4, s55
	v_add_co_u32_e64 v2, s[12:13], s54, v2
	v_addc_co_u32_e64 v3, s[12:13], v4, v3, s[12:13]
	s_waitcnt vmcnt(1)
	global_store_dword v[2:3], v12, off
	s_branch .LBB36_45
.LBB36_84:
	s_waitcnt lgkmcnt(0)
	v_add_u32_e32 v1, v19, v6
	v_add_u32_e32 v2, v1, v0
	v_cmp_lt_i32_e32 vcc, v2, v7
	s_and_saveexec_b64 s[0:1], vcc
	s_cbranch_execz .LBB36_92
; %bb.85:
	v_add_u32_e32 v3, 0x100, v2
	v_max_i32_e32 v4, v7, v3
	s_and_b32 s0, s33, 0xffffff
	s_lshl_b32 s1, s31, 24
	v_xad_u32 v0, v0, -1, v4
	s_or_b32 s6, s0, s1
	v_sub_u32_e32 v0, v0, v1
	s_movk_i32 s0, 0xff
	v_cmp_lt_u32_e32 vcc, s0, v0
	s_mov_b64 s[0:1], -1
	s_and_saveexec_b64 s[2:3], vcc
	s_cbranch_execz .LBB36_89
; %bb.86:
	v_lshrrev_b32_e32 v0, 8, v0
	v_add_u32_e32 v4, 1, v0
	v_and_b32_e32 v5, 0x1fffffe, v4
	s_mov_b64 s[4:5], 0
	v_mov_b32_e32 v6, s53
	v_mov_b32_e32 v8, s6
	;; [unrolled: 1-line block ×5, first 2 shown]
	v_pk_mov_b32 v[0:1], v[2:3], v[2:3] op_sel:[0,1]
.LBB36_87:                              ; =>This Inner Loop Header: Depth=1
	v_ashrrev_i32_e32 v15, 31, v0
	v_mov_b32_e32 v14, v0
	v_lshlrev_b64 v[14:15], 2, v[14:15]
	v_ashrrev_i32_e32 v13, 31, v1
	v_mov_b32_e32 v12, v1
	v_add_co_u32_e64 v16, s[0:1], s52, v14
	v_lshlrev_b64 v[12:13], 2, v[12:13]
	v_addc_co_u32_e64 v17, s[0:1], v6, v15, s[0:1]
	v_add_co_u32_e64 v18, s[0:1], s52, v12
	v_addc_co_u32_e64 v19, s[0:1], v6, v13, s[0:1]
	v_add_u32_e32 v11, -2, v11
	v_add_co_u32_e64 v14, s[0:1], s54, v14
	v_cmp_eq_u32_e32 vcc, 0, v11
	v_addc_co_u32_e64 v15, s[0:1], v9, v15, s[0:1]
	v_add_u32_e32 v1, 0x200, v1
	v_add_u32_e32 v0, 0x200, v0
	v_add_co_u32_e64 v12, s[0:1], s54, v12
	s_or_b64 s[4:5], vcc, s[4:5]
	v_addc_co_u32_e64 v13, s[0:1], v9, v13, s[0:1]
	global_store_dword v[16:17], v8, off
	global_store_dword v[18:19], v8, off
	;; [unrolled: 1-line block ×4, first 2 shown]
	s_andn2_b64 exec, exec, s[4:5]
	s_cbranch_execnz .LBB36_87
; %bb.88:
	s_or_b64 exec, exec, s[4:5]
	v_cmp_ne_u32_e32 vcc, v4, v5
	v_lshl_add_u32 v2, v5, 8, v2
	s_orn2_b64 s[0:1], vcc, exec
.LBB36_89:
	s_or_b64 exec, exec, s[2:3]
	s_and_b64 exec, exec, s[0:1]
	s_cbranch_execz .LBB36_92
; %bb.90:
	v_ashrrev_i32_e32 v3, 31, v2
	v_lshlrev_b64 v[4:5], 2, v[2:3]
	v_mov_b32_e32 v1, s53
	v_add_co_u32_e32 v0, vcc, s52, v4
	v_addc_co_u32_e32 v1, vcc, v1, v5, vcc
	v_mov_b32_e32 v3, s55
	v_add_co_u32_e32 v4, vcc, s54, v4
	v_addc_co_u32_e32 v5, vcc, v3, v5, vcc
	s_mov_b64 s[2:3], 0
	v_mov_b32_e32 v3, s6
	v_mov_b32_e32 v6, 0
.LBB36_91:                              ; =>This Inner Loop Header: Depth=1
	global_store_dword v[0:1], v3, off
	global_store_dword v[4:5], v6, off
	v_add_co_u32_e32 v0, vcc, 0x400, v0
	v_add_u32_e32 v2, 0x100, v2
	v_addc_co_u32_e32 v1, vcc, 0, v1, vcc
	v_add_co_u32_e32 v4, vcc, 0x400, v4
	v_cmp_ge_i32_e64 s[0:1], v2, v7
	s_or_b64 s[2:3], s[0:1], s[2:3]
	v_addc_co_u32_e32 v5, vcc, 0, v5, vcc
	s_andn2_b64 exec, exec, s[2:3]
	s_cbranch_execnz .LBB36_91
.LBB36_92:
	s_endpgm
	.section	.rodata,"a",@progbits
	.p2align	6, 0x0
	.amdhsa_kernel _ZN5aiter22opus_moe_sorting_entryINS_30MoeSortingMultiPhaseKernel_P23INS_19MoeSortingProblemMpIifhLi16ELb1ELb1ELb1EEEEENS4_5KargsEEEvT0_
		.amdhsa_group_segment_fixed_size 0
		.amdhsa_private_segment_fixed_size 0
		.amdhsa_kernarg_size 400
		.amdhsa_user_sgpr_count 6
		.amdhsa_user_sgpr_private_segment_buffer 1
		.amdhsa_user_sgpr_dispatch_ptr 0
		.amdhsa_user_sgpr_queue_ptr 0
		.amdhsa_user_sgpr_kernarg_segment_ptr 1
		.amdhsa_user_sgpr_dispatch_id 0
		.amdhsa_user_sgpr_flat_scratch_init 0
		.amdhsa_user_sgpr_kernarg_preload_length 0
		.amdhsa_user_sgpr_kernarg_preload_offset 0
		.amdhsa_user_sgpr_private_segment_size 0
		.amdhsa_uses_dynamic_stack 0
		.amdhsa_system_sgpr_private_segment_wavefront_offset 0
		.amdhsa_system_sgpr_workgroup_id_x 1
		.amdhsa_system_sgpr_workgroup_id_y 0
		.amdhsa_system_sgpr_workgroup_id_z 0
		.amdhsa_system_sgpr_workgroup_info 0
		.amdhsa_system_vgpr_workitem_id 0
		.amdhsa_next_free_vgpr 63
		.amdhsa_next_free_sgpr 65
		.amdhsa_accum_offset 64
		.amdhsa_reserve_vcc 1
		.amdhsa_reserve_flat_scratch 0
		.amdhsa_float_round_mode_32 0
		.amdhsa_float_round_mode_16_64 0
		.amdhsa_float_denorm_mode_32 3
		.amdhsa_float_denorm_mode_16_64 3
		.amdhsa_dx10_clamp 1
		.amdhsa_ieee_mode 1
		.amdhsa_fp16_overflow 0
		.amdhsa_tg_split 0
		.amdhsa_exception_fp_ieee_invalid_op 0
		.amdhsa_exception_fp_denorm_src 0
		.amdhsa_exception_fp_ieee_div_zero 0
		.amdhsa_exception_fp_ieee_overflow 0
		.amdhsa_exception_fp_ieee_underflow 0
		.amdhsa_exception_fp_ieee_inexact 0
		.amdhsa_exception_int_div_zero 0
	.end_amdhsa_kernel
	.section	.text._ZN5aiter22opus_moe_sorting_entryINS_30MoeSortingMultiPhaseKernel_P23INS_19MoeSortingProblemMpIifhLi16ELb1ELb1ELb1EEEEENS4_5KargsEEEvT0_,"axG",@progbits,_ZN5aiter22opus_moe_sorting_entryINS_30MoeSortingMultiPhaseKernel_P23INS_19MoeSortingProblemMpIifhLi16ELb1ELb1ELb1EEEEENS4_5KargsEEEvT0_,comdat
.Lfunc_end36:
	.size	_ZN5aiter22opus_moe_sorting_entryINS_30MoeSortingMultiPhaseKernel_P23INS_19MoeSortingProblemMpIifhLi16ELb1ELb1ELb1EEEEENS4_5KargsEEEvT0_, .Lfunc_end36-_ZN5aiter22opus_moe_sorting_entryINS_30MoeSortingMultiPhaseKernel_P23INS_19MoeSortingProblemMpIifhLi16ELb1ELb1ELb1EEEEENS4_5KargsEEEvT0_
                                        ; -- End function
	.section	.AMDGPU.csdata,"",@progbits
; Kernel info:
; codeLenInByte = 6248
; NumSgprs: 69
; NumVgprs: 63
; NumAgprs: 0
; TotalNumVgprs: 63
; ScratchSize: 0
; MemoryBound: 0
; FloatMode: 240
; IeeeMode: 1
; LDSByteSize: 0 bytes/workgroup (compile time only)
; SGPRBlocks: 8
; VGPRBlocks: 7
; NumSGPRsForWavesPerEU: 69
; NumVGPRsForWavesPerEU: 63
; AccumOffset: 64
; Occupancy: 8
; WaveLimiterHint : 0
; COMPUTE_PGM_RSRC2:SCRATCH_EN: 0
; COMPUTE_PGM_RSRC2:USER_SGPR: 6
; COMPUTE_PGM_RSRC2:TRAP_HANDLER: 0
; COMPUTE_PGM_RSRC2:TGID_X_EN: 1
; COMPUTE_PGM_RSRC2:TGID_Y_EN: 0
; COMPUTE_PGM_RSRC2:TGID_Z_EN: 0
; COMPUTE_PGM_RSRC2:TIDIG_COMP_CNT: 0
; COMPUTE_PGM_RSRC3_GFX90A:ACCUM_OFFSET: 15
; COMPUTE_PGM_RSRC3_GFX90A:TG_SPLIT: 0
	.section	.text._ZN5aiter22opus_moe_sorting_entryINS_32MoeSortingMultiPhaseKernel_P0_v2INS_19MoeSortingProblemMpIifhLi4ELb1ELb0ELb1EEEEENS4_5KargsEEEvT0_,"axG",@progbits,_ZN5aiter22opus_moe_sorting_entryINS_32MoeSortingMultiPhaseKernel_P0_v2INS_19MoeSortingProblemMpIifhLi4ELb1ELb0ELb1EEEEENS4_5KargsEEEvT0_,comdat
	.protected	_ZN5aiter22opus_moe_sorting_entryINS_32MoeSortingMultiPhaseKernel_P0_v2INS_19MoeSortingProblemMpIifhLi4ELb1ELb0ELb1EEEEENS4_5KargsEEEvT0_ ; -- Begin function _ZN5aiter22opus_moe_sorting_entryINS_32MoeSortingMultiPhaseKernel_P0_v2INS_19MoeSortingProblemMpIifhLi4ELb1ELb0ELb1EEEEENS4_5KargsEEEvT0_
	.globl	_ZN5aiter22opus_moe_sorting_entryINS_32MoeSortingMultiPhaseKernel_P0_v2INS_19MoeSortingProblemMpIifhLi4ELb1ELb0ELb1EEEEENS4_5KargsEEEvT0_
	.p2align	8
	.type	_ZN5aiter22opus_moe_sorting_entryINS_32MoeSortingMultiPhaseKernel_P0_v2INS_19MoeSortingProblemMpIifhLi4ELb1ELb0ELb1EEEEENS4_5KargsEEEvT0_,@function
_ZN5aiter22opus_moe_sorting_entryINS_32MoeSortingMultiPhaseKernel_P0_v2INS_19MoeSortingProblemMpIifhLi4ELb1ELb0ELb1EEEEENS4_5KargsEEEvT0_: ; @_ZN5aiter22opus_moe_sorting_entryINS_32MoeSortingMultiPhaseKernel_P0_v2INS_19MoeSortingProblemMpIifhLi4ELb1ELb0ELb1EEEEENS4_5KargsEEEvT0_
; %bb.0:
	s_load_dwordx4 s[8:11], s[4:5], 0x18
	s_load_dwordx2 s[2:3], s[4:5], 0x10
	s_load_dword s27, s[4:5], 0x28
	s_waitcnt lgkmcnt(0)
	s_mul_i32 s7, s9, s6
	s_ashr_i32 s26, s7, 31
	s_add_u32 s12, s2, s7
	s_addc_u32 s13, s3, s26
	v_cmp_gt_i32_e32 vcc, s9, v0
	s_and_saveexec_b64 s[14:15], vcc
	s_cbranch_execz .LBB37_8
; %bb.1:
	v_xad_u32 v1, v0, -1, s9
	s_movk_i32 s0, 0xdff
	v_cmp_lt_u32_e32 vcc, s0, v1
	s_mov_b64 s[16:17], -1
	v_mov_b32_e32 v2, v0
	s_and_saveexec_b64 s[0:1], vcc
	s_cbranch_execz .LBB37_5
; %bb.2:
	v_lshrrev_b32_e32 v1, 9, v1
	v_add_u32_e32 v10, 1, v1
	v_add_u32_e32 v7, 0xe00, v0
	v_or_b32_e32 v6, 0xc00, v0
	v_add_u32_e32 v5, 0xa00, v0
	v_or_b32_e32 v4, 0x800, v0
	;; [unrolled: 2-line block ×3, first 2 shown]
	v_and_b32_e32 v11, 0xfffff8, v10
	v_add_u32_e32 v1, 0x200, v0
	v_pk_mov_b32 v[8:9], v[6:7], v[6:7] op_sel:[0,1]
	s_mov_b64 s[16:17], 0
	v_mov_b32_e32 v12, s13
	v_mov_b32_e32 v13, 0
	;; [unrolled: 1-line block ×3, first 2 shown]
	v_pk_mov_b32 v[6:7], v[4:5], v[4:5] op_sel:[0,1]
	v_pk_mov_b32 v[4:5], v[2:3], v[2:3] op_sel:[0,1]
	;; [unrolled: 1-line block ×3, first 2 shown]
.LBB37_3:                               ; =>This Inner Loop Header: Depth=1
	v_add_co_u32_e32 v16, vcc, s12, v2
	v_addc_co_u32_e32 v17, vcc, 0, v12, vcc
	v_add_co_u32_e32 v18, vcc, s12, v3
	v_addc_co_u32_e32 v19, vcc, 0, v12, vcc
	;; [unrolled: 2-line block ×8, first 2 shown]
	v_add_u32_e32 v14, -8, v14
	v_cmp_eq_u32_e32 vcc, 0, v14
	v_add_u32_e32 v9, 0x1000, v9
	v_add_u32_e32 v8, 0x1000, v8
	;; [unrolled: 1-line block ×8, first 2 shown]
	s_or_b64 s[16:17], vcc, s[16:17]
	global_store_byte v[16:17], v13, off
	global_store_byte v[18:19], v13, off
	;; [unrolled: 1-line block ×8, first 2 shown]
	s_andn2_b64 exec, exec, s[16:17]
	s_cbranch_execnz .LBB37_3
; %bb.4:
	s_or_b64 exec, exec, s[16:17]
	v_cmp_ne_u32_e32 vcc, v10, v11
	v_lshl_or_b32 v2, v11, 9, v0
	s_orn2_b64 s[16:17], vcc, exec
.LBB37_5:
	s_or_b64 exec, exec, s[0:1]
	s_and_b64 exec, exec, s[16:17]
	s_cbranch_execz .LBB37_8
; %bb.6:
	v_mov_b32_e32 v3, 0
	s_mov_b64 s[16:17], 0
	v_mov_b32_e32 v1, s13
	v_pk_mov_b32 v[4:5], v[2:3], v[2:3] op_sel:[0,1]
.LBB37_7:                               ; =>This Inner Loop Header: Depth=1
	v_add_co_u32_e32 v6, vcc, s12, v4
	v_addc_co_u32_e32 v7, vcc, v1, v5, vcc
	v_add_co_u32_e32 v4, vcc, 0x200, v4
	v_cmp_le_i32_e64 s[0:1], s9, v4
	s_or_b64 s[16:17], s[0:1], s[16:17]
	v_addc_co_u32_e32 v5, vcc, 0, v5, vcc
	global_store_byte v[6:7], v3, off
	s_andn2_b64 exec, exec, s[16:17]
	s_cbranch_execnz .LBB37_7
.LBB37_8:
	s_or_b64 exec, exec, s[14:15]
	s_load_dwordx2 s[14:15], s[4:5], 0x38
	s_mul_i32 s0, s10, s8
	s_lshr_b32 s8, s0, 2
	v_cmp_gt_u32_e32 vcc, s8, v0
	s_waitcnt lgkmcnt(0)
	s_barrier
	s_and_saveexec_b64 s[16:17], vcc
	s_cbranch_execz .LBB37_56
; %bb.9:
	s_load_dwordx2 s[18:19], s[4:5], 0x0
	v_xad_u32 v1, v0, -1, s8
	v_lshrrev_b32_e32 v2, 9, v1
	v_add_u32_e32 v2, 1, v2
	v_and_b32_e32 v2, 3, v2
	s_mov_b32 s5, 0
	s_mov_b32 s4, s11
	v_cmp_ne_u32_e32 vcc, 0, v2
	v_mov_b32_e32 v6, v0
	s_and_saveexec_b64 s[20:21], vcc
	s_cbranch_execz .LBB37_21
; %bb.10:
	v_lshlrev_b32_e32 v7, 2, v0
	v_or_b32_e32 v3, 3, v7
	v_mad_u64_u32 v[8:9], s[0:1], v3, s4, 0
	v_or_b32_e32 v3, 2, v7
	v_pk_mov_b32 v[4:5], s[4:5], s[4:5] op_sel:[0,1]
	v_mad_u64_u32 v[10:11], s[0:1], v3, s4, 0
	v_mad_u64_u32 v[12:13], s[0:1], s4, v7, v[4:5]
	v_mad_u64_u32 v[4:5], s[0:1], v0, s4, 0
	v_lshlrev_b32_e32 v3, 4, v0
	s_lshl_b64 s[22:23], s[4:5], 11
	v_lshlrev_b64 v[14:15], 2, v[4:5]
	s_waitcnt lgkmcnt(0)
	v_mov_b32_e32 v4, s19
	v_add_co_u32_e32 v16, vcc, s18, v3
	s_sub_i32 s11, 0, s10
	v_addc_co_u32_e32 v17, vcc, 0, v4, vcc
	v_lshlrev_b32_e32 v18, 11, v2
	s_mov_b64 s[24:25], 0
	v_mov_b32_e32 v19, s23
	v_mov_b32_e32 v6, v0
	s_branch .LBB37_12
.LBB37_11:                              ;   in Loop: Header=BB37_12 Depth=1
	s_or_b64 exec, exec, s[0:1]
	v_add_co_u32_e32 v8, vcc, s22, v8
	v_addc_co_u32_e32 v9, vcc, v9, v19, vcc
	v_add_co_u32_e32 v10, vcc, s22, v10
	v_addc_co_u32_e32 v11, vcc, v11, v19, vcc
	;; [unrolled: 2-line block ×3, first 2 shown]
	v_add_co_u32_e32 v14, vcc, s22, v14
	s_addk_i32 s5, 0x800
	v_addc_co_u32_e32 v15, vcc, v15, v19, vcc
	v_add_co_u32_e32 v16, vcc, 0x2000, v16
	v_cmp_eq_u32_e64 s[0:1], s5, v18
	v_add_u32_e32 v6, 0x200, v6
	s_or_b64 s[24:25], s[0:1], s[24:25]
	v_addc_co_u32_e32 v17, vcc, 0, v17, vcc
	s_andn2_b64 exec, exec, s[24:25]
	s_cbranch_execz .LBB37_20
.LBB37_12:                              ; =>This Inner Loop Header: Depth=1
	global_load_dwordx4 v[2:5], v[16:17], off
	s_waitcnt vmcnt(0)
	v_cmp_eq_u32_e32 vcc, s6, v2
	v_add_u32_e32 v2, s5, v7
	s_and_saveexec_b64 s[0:1], vcc
	s_cbranch_execnz .LBB37_16
; %bb.13:                               ;   in Loop: Header=BB37_12 Depth=1
	s_or_b64 exec, exec, s[0:1]
	v_cmp_eq_u32_e32 vcc, s6, v3
	s_and_saveexec_b64 s[0:1], vcc
	s_cbranch_execnz .LBB37_17
.LBB37_14:                              ;   in Loop: Header=BB37_12 Depth=1
	s_or_b64 exec, exec, s[0:1]
	v_cmp_eq_u32_e32 vcc, s6, v4
	s_and_saveexec_b64 s[0:1], vcc
	s_cbranch_execnz .LBB37_18
.LBB37_15:                              ;   in Loop: Header=BB37_12 Depth=1
	s_or_b64 exec, exec, s[0:1]
	v_cmp_eq_u32_e32 vcc, s6, v5
	s_and_saveexec_b64 s[0:1], vcc
	s_cbranch_execz .LBB37_11
	s_branch .LBB37_19
.LBB37_16:                              ;   in Loop: Header=BB37_12 Depth=1
	v_add_u32_e32 v20, v2, v15
	v_lshrrev_b32_e32 v22, s27, v20
	v_mad_u64_u32 v[20:21], s[28:29], s11, v22, v[2:3]
	v_add_u16_e32 v20, 1, v20
	global_store_byte v22, v20, s[12:13]
	s_or_b64 exec, exec, s[0:1]
	v_cmp_eq_u32_e32 vcc, s6, v3
	s_and_saveexec_b64 s[0:1], vcc
	s_cbranch_execz .LBB37_14
.LBB37_17:                              ;   in Loop: Header=BB37_12 Depth=1
	v_add3_u32 v3, v13, v2, 1
	v_lshrrev_b32_e32 v3, s27, v3
	v_mad_u64_u32 v[20:21], s[28:29], s11, v3, v[2:3]
	v_add_u16_e32 v20, 2, v20
	global_store_byte v3, v20, s[12:13]
	s_or_b64 exec, exec, s[0:1]
	v_cmp_eq_u32_e32 vcc, s6, v4
	s_and_saveexec_b64 s[0:1], vcc
	s_cbranch_execz .LBB37_15
.LBB37_18:                              ;   in Loop: Header=BB37_12 Depth=1
	v_add3_u32 v3, v11, v2, 2
	v_lshrrev_b32_e32 v3, s27, v3
	v_mad_u64_u32 v[20:21], s[28:29], s11, v3, v[2:3]
	v_add_u16_e32 v4, 3, v20
	global_store_byte v3, v4, s[12:13]
	s_or_b64 exec, exec, s[0:1]
	v_cmp_eq_u32_e32 vcc, s6, v5
	s_and_saveexec_b64 s[0:1], vcc
	s_cbranch_execz .LBB37_11
.LBB37_19:                              ;   in Loop: Header=BB37_12 Depth=1
	v_add3_u32 v3, v9, v2, 3
	v_lshrrev_b32_e32 v4, s27, v3
	v_mad_u64_u32 v[2:3], s[28:29], s11, v4, v[2:3]
	v_add_u16_e32 v2, 4, v2
	global_store_byte v4, v2, s[12:13]
	s_branch .LBB37_11
.LBB37_20:
	s_or_b64 exec, exec, s[24:25]
.LBB37_21:
	s_or_b64 exec, exec, s[20:21]
	s_movk_i32 s0, 0x5ff
	v_cmp_lt_u32_e32 vcc, s0, v1
	s_and_b64 exec, exec, vcc
	s_cbranch_execz .LBB37_56
; %bb.22:
	v_mov_b32_e32 v7, 0
	v_lshlrev_b64 v[2:3], 4, v[6:7]
	v_lshlrev_b32_e32 v1, 2, v6
	s_waitcnt lgkmcnt(0)
	v_mov_b32_e32 v4, s19
	v_add_co_u32_e32 v10, vcc, s18, v2
	s_sub_i32 s5, 0, s10
	v_add_u32_e32 v8, 0x1803, v1
	v_add_u32_e32 v9, 0x1802, v1
	v_add_u32_e32 v12, 0x1801, v1
	v_add_u32_e32 v13, 0x1800, v1
	v_addc_co_u32_e32 v11, vcc, v4, v3, vcc
	v_add_u32_e32 v7, 0x1003, v1
	v_add_u32_e32 v14, 0x1002, v1
	;; [unrolled: 1-line block ×4, first 2 shown]
	v_or_b32_e32 v17, 1, v1
	v_or_b32_e32 v18, 2, v1
	;; [unrolled: 1-line block ×3, first 2 shown]
	v_add_u32_e32 v20, 0x803, v1
	v_add_u32_e32 v21, 0x802, v1
	;; [unrolled: 1-line block ×4, first 2 shown]
	s_mov_b64 s[0:1], 0
	s_movk_i32 s18, 0xe7fd
	s_movk_i32 s19, 0xe7fe
	;; [unrolled: 1-line block ×12, first 2 shown]
	s_branch .LBB37_24
.LBB37_23:                              ;   in Loop: Header=BB37_24 Depth=1
	s_or_b64 exec, exec, s[10:11]
	v_add_co_u32_e32 v10, vcc, 0x8000, v10
	v_add_u32_e32 v6, 0x800, v6
	v_addc_co_u32_e32 v11, vcc, 0, v11, vcc
	v_cmp_le_u32_e32 vcc, s8, v6
	v_add_u32_e32 v8, 0x2000, v8
	v_add_u32_e32 v9, 0x2000, v9
	;; [unrolled: 1-line block ×15, first 2 shown]
	s_or_b64 s[0:1], vcc, s[0:1]
	v_add_u32_e32 v23, 0x2000, v23
	s_andn2_b64 exec, exec, s[0:1]
	s_cbranch_execz .LBB37_56
.LBB37_24:                              ; =>This Inner Loop Header: Depth=1
	global_load_dwordx4 v[2:5], v[10:11], off
	s_waitcnt vmcnt(0)
	v_cmp_eq_u32_e32 vcc, s6, v2
	s_and_saveexec_b64 s[10:11], vcc
	s_cbranch_execnz .LBB37_43
; %bb.25:                               ;   in Loop: Header=BB37_24 Depth=1
	s_or_b64 exec, exec, s[10:11]
	v_cmp_eq_u32_e32 vcc, s6, v3
	s_and_saveexec_b64 s[10:11], vcc
	s_cbranch_execnz .LBB37_44
.LBB37_26:                              ;   in Loop: Header=BB37_24 Depth=1
	s_or_b64 exec, exec, s[10:11]
	v_cmp_eq_u32_e32 vcc, s6, v4
	s_and_saveexec_b64 s[10:11], vcc
	s_cbranch_execnz .LBB37_45
.LBB37_27:                              ;   in Loop: Header=BB37_24 Depth=1
	s_or_b64 exec, exec, s[10:11]
	v_cmp_eq_u32_e32 vcc, s6, v5
	s_and_saveexec_b64 s[10:11], vcc
	s_cbranch_execz .LBB37_29
.LBB37_28:                              ;   in Loop: Header=BB37_24 Depth=1
	v_mul_hi_u32 v2, s4, v19
	v_add3_u32 v2, v8, v2, s21
	v_lshrrev_b32_e32 v4, s27, v2
	v_mad_u64_u32 v[2:3], s[34:35], s5, v4, v[8:9]
	v_add_u16_e32 v2, 1, v2
	global_store_byte v4, v2, s[12:13]
.LBB37_29:                              ;   in Loop: Header=BB37_24 Depth=1
	s_or_b64 exec, exec, s[10:11]
	v_add_co_u32_e32 v2, vcc, 0x2000, v10
	v_addc_co_u32_e32 v3, vcc, 0, v11, vcc
	global_load_dwordx4 v[2:5], v[2:3], off
	s_waitcnt vmcnt(0)
	v_cmp_eq_u32_e32 vcc, s6, v2
	s_and_saveexec_b64 s[10:11], vcc
	s_cbranch_execnz .LBB37_46
; %bb.30:                               ;   in Loop: Header=BB37_24 Depth=1
	s_or_b64 exec, exec, s[10:11]
	v_cmp_eq_u32_e32 vcc, s6, v3
	s_and_saveexec_b64 s[10:11], vcc
	s_cbranch_execnz .LBB37_47
.LBB37_31:                              ;   in Loop: Header=BB37_24 Depth=1
	s_or_b64 exec, exec, s[10:11]
	v_cmp_eq_u32_e32 vcc, s6, v4
	s_and_saveexec_b64 s[10:11], vcc
	s_cbranch_execnz .LBB37_48
.LBB37_32:                              ;   in Loop: Header=BB37_24 Depth=1
	s_or_b64 exec, exec, s[10:11]
	v_cmp_eq_u32_e32 vcc, s6, v5
	s_and_saveexec_b64 s[10:11], vcc
	s_cbranch_execz .LBB37_34
.LBB37_33:                              ;   in Loop: Header=BB37_24 Depth=1
	v_mul_hi_u32 v2, s4, v20
	v_add3_u32 v2, v8, v2, s25
	v_lshrrev_b32_e32 v4, s27, v2
	v_mad_u64_u32 v[2:3], s[34:35], s5, v4, v[8:9]
	v_add_u16_e32 v2, 1, v2
	global_store_byte v4, v2, s[12:13]
.LBB37_34:                              ;   in Loop: Header=BB37_24 Depth=1
	s_or_b64 exec, exec, s[10:11]
	v_add_co_u32_e32 v2, vcc, 0x4000, v10
	v_addc_co_u32_e32 v3, vcc, 0, v11, vcc
	global_load_dwordx4 v[2:5], v[2:3], off
	s_waitcnt vmcnt(0)
	v_cmp_eq_u32_e32 vcc, s6, v2
	s_and_saveexec_b64 s[10:11], vcc
	s_cbranch_execnz .LBB37_49
; %bb.35:                               ;   in Loop: Header=BB37_24 Depth=1
	s_or_b64 exec, exec, s[10:11]
	v_cmp_eq_u32_e32 vcc, s6, v3
	s_and_saveexec_b64 s[10:11], vcc
	s_cbranch_execnz .LBB37_50
.LBB37_36:                              ;   in Loop: Header=BB37_24 Depth=1
	s_or_b64 exec, exec, s[10:11]
	v_cmp_eq_u32_e32 vcc, s6, v4
	s_and_saveexec_b64 s[10:11], vcc
	s_cbranch_execnz .LBB37_51
.LBB37_37:                              ;   in Loop: Header=BB37_24 Depth=1
	s_or_b64 exec, exec, s[10:11]
	v_cmp_eq_u32_e32 vcc, s6, v5
	s_and_saveexec_b64 s[10:11], vcc
	s_cbranch_execz .LBB37_39
.LBB37_38:                              ;   in Loop: Header=BB37_24 Depth=1
	v_mul_hi_u32 v2, s4, v7
	v_add3_u32 v2, v8, v2, s31
	v_lshrrev_b32_e32 v4, s27, v2
	v_mad_u64_u32 v[2:3], s[34:35], s5, v4, v[8:9]
	v_add_u16_e32 v2, 1, v2
	global_store_byte v4, v2, s[12:13]
.LBB37_39:                              ;   in Loop: Header=BB37_24 Depth=1
	s_or_b64 exec, exec, s[10:11]
	v_add_co_u32_e32 v2, vcc, 0x6000, v10
	v_addc_co_u32_e32 v3, vcc, 0, v11, vcc
	global_load_dwordx4 v[2:5], v[2:3], off
	s_waitcnt vmcnt(0)
	v_cmp_eq_u32_e32 vcc, s6, v2
	s_and_saveexec_b64 s[10:11], vcc
	s_cbranch_execnz .LBB37_52
; %bb.40:                               ;   in Loop: Header=BB37_24 Depth=1
	s_or_b64 exec, exec, s[10:11]
	v_cmp_eq_u32_e32 vcc, s6, v3
	s_and_saveexec_b64 s[10:11], vcc
	s_cbranch_execnz .LBB37_53
.LBB37_41:                              ;   in Loop: Header=BB37_24 Depth=1
	s_or_b64 exec, exec, s[10:11]
	v_cmp_eq_u32_e32 vcc, s6, v4
	s_and_saveexec_b64 s[10:11], vcc
	s_cbranch_execnz .LBB37_54
.LBB37_42:                              ;   in Loop: Header=BB37_24 Depth=1
	s_or_b64 exec, exec, s[10:11]
	v_cmp_eq_u32_e32 vcc, s6, v5
	s_and_saveexec_b64 s[10:11], vcc
	s_cbranch_execz .LBB37_23
	s_branch .LBB37_55
.LBB37_43:                              ;   in Loop: Header=BB37_24 Depth=1
	v_mul_hi_u32 v2, s4, v1
	v_add3_u32 v2, v8, v2, s18
	v_lshrrev_b32_e32 v2, s27, v2
	v_mad_u64_u32 v[24:25], s[34:35], s5, v2, v[8:9]
	v_add_u16_e32 v24, -2, v24
	global_store_byte v2, v24, s[12:13]
	s_or_b64 exec, exec, s[10:11]
	v_cmp_eq_u32_e32 vcc, s6, v3
	s_and_saveexec_b64 s[10:11], vcc
	s_cbranch_execz .LBB37_26
.LBB37_44:                              ;   in Loop: Header=BB37_24 Depth=1
	v_mul_hi_u32 v2, s4, v17
	v_add3_u32 v2, v8, v2, s19
	v_lshrrev_b32_e32 v24, s27, v2
	v_mad_u64_u32 v[2:3], s[34:35], s5, v24, v[8:9]
	v_add_u16_e32 v2, -1, v2
	global_store_byte v24, v2, s[12:13]
	s_or_b64 exec, exec, s[10:11]
	v_cmp_eq_u32_e32 vcc, s6, v4
	s_and_saveexec_b64 s[10:11], vcc
	s_cbranch_execz .LBB37_27
.LBB37_45:                              ;   in Loop: Header=BB37_24 Depth=1
	v_mul_hi_u32 v2, s4, v18
	v_add3_u32 v2, v8, v2, s20
	v_lshrrev_b32_e32 v4, s27, v2
	v_mad_u64_u32 v[2:3], s[34:35], s5, v4, v[8:9]
	global_store_byte v4, v2, s[12:13]
	s_or_b64 exec, exec, s[10:11]
	v_cmp_eq_u32_e32 vcc, s6, v5
	s_and_saveexec_b64 s[10:11], vcc
	s_cbranch_execnz .LBB37_28
	s_branch .LBB37_29
.LBB37_46:                              ;   in Loop: Header=BB37_24 Depth=1
	v_mul_hi_u32 v2, s4, v23
	v_add3_u32 v2, v8, v2, s22
	v_lshrrev_b32_e32 v2, s27, v2
	v_mad_u64_u32 v[24:25], s[34:35], s5, v2, v[8:9]
	v_add_u16_e32 v24, -2, v24
	global_store_byte v2, v24, s[12:13]
	s_or_b64 exec, exec, s[10:11]
	v_cmp_eq_u32_e32 vcc, s6, v3
	s_and_saveexec_b64 s[10:11], vcc
	s_cbranch_execz .LBB37_31
.LBB37_47:                              ;   in Loop: Header=BB37_24 Depth=1
	v_mul_hi_u32 v2, s4, v22
	v_add3_u32 v2, v8, v2, s23
	v_lshrrev_b32_e32 v24, s27, v2
	v_mad_u64_u32 v[2:3], s[34:35], s5, v24, v[8:9]
	v_add_u16_e32 v2, -1, v2
	global_store_byte v24, v2, s[12:13]
	s_or_b64 exec, exec, s[10:11]
	v_cmp_eq_u32_e32 vcc, s6, v4
	s_and_saveexec_b64 s[10:11], vcc
	s_cbranch_execz .LBB37_32
.LBB37_48:                              ;   in Loop: Header=BB37_24 Depth=1
	v_mul_hi_u32 v2, s4, v21
	v_add3_u32 v2, v8, v2, s24
	v_lshrrev_b32_e32 v4, s27, v2
	v_mad_u64_u32 v[2:3], s[34:35], s5, v4, v[8:9]
	global_store_byte v4, v2, s[12:13]
	s_or_b64 exec, exec, s[10:11]
	v_cmp_eq_u32_e32 vcc, s6, v5
	s_and_saveexec_b64 s[10:11], vcc
	s_cbranch_execnz .LBB37_33
	s_branch .LBB37_34
.LBB37_49:                              ;   in Loop: Header=BB37_24 Depth=1
	v_mul_hi_u32 v2, s4, v16
	v_add3_u32 v2, v8, v2, s28
	v_lshrrev_b32_e32 v2, s27, v2
	v_mad_u64_u32 v[24:25], s[34:35], s5, v2, v[8:9]
	v_add_u16_e32 v24, -2, v24
	global_store_byte v2, v24, s[12:13]
	s_or_b64 exec, exec, s[10:11]
	v_cmp_eq_u32_e32 vcc, s6, v3
	s_and_saveexec_b64 s[10:11], vcc
	s_cbranch_execz .LBB37_36
.LBB37_50:                              ;   in Loop: Header=BB37_24 Depth=1
	v_mul_hi_u32 v2, s4, v15
	v_add3_u32 v2, v8, v2, s29
	v_lshrrev_b32_e32 v24, s27, v2
	v_mad_u64_u32 v[2:3], s[34:35], s5, v24, v[8:9]
	v_add_u16_e32 v2, -1, v2
	global_store_byte v24, v2, s[12:13]
	s_or_b64 exec, exec, s[10:11]
	v_cmp_eq_u32_e32 vcc, s6, v4
	s_and_saveexec_b64 s[10:11], vcc
	s_cbranch_execz .LBB37_37
.LBB37_51:                              ;   in Loop: Header=BB37_24 Depth=1
	v_mul_hi_u32 v2, s4, v14
	v_add3_u32 v2, v8, v2, s30
	v_lshrrev_b32_e32 v4, s27, v2
	v_mad_u64_u32 v[2:3], s[34:35], s5, v4, v[8:9]
	global_store_byte v4, v2, s[12:13]
	s_or_b64 exec, exec, s[10:11]
	v_cmp_eq_u32_e32 vcc, s6, v5
	s_and_saveexec_b64 s[10:11], vcc
	s_cbranch_execnz .LBB37_38
	s_branch .LBB37_39
.LBB37_52:                              ;   in Loop: Header=BB37_24 Depth=1
	v_mul_hi_u32 v2, s4, v13
	v_add3_u32 v2, v8, v2, -3
	v_lshrrev_b32_e32 v2, s27, v2
	v_mad_u64_u32 v[24:25], s[34:35], s5, v2, v[8:9]
	v_add_u16_e32 v24, -2, v24
	global_store_byte v2, v24, s[12:13]
	s_or_b64 exec, exec, s[10:11]
	v_cmp_eq_u32_e32 vcc, s6, v3
	s_and_saveexec_b64 s[10:11], vcc
	s_cbranch_execz .LBB37_41
.LBB37_53:                              ;   in Loop: Header=BB37_24 Depth=1
	v_mul_hi_u32 v2, s4, v12
	v_add3_u32 v2, v8, v2, -2
	v_lshrrev_b32_e32 v24, s27, v2
	v_mad_u64_u32 v[2:3], s[34:35], s5, v24, v[8:9]
	v_add_u16_e32 v2, -1, v2
	global_store_byte v24, v2, s[12:13]
	s_or_b64 exec, exec, s[10:11]
	v_cmp_eq_u32_e32 vcc, s6, v4
	s_and_saveexec_b64 s[10:11], vcc
	s_cbranch_execz .LBB37_42
.LBB37_54:                              ;   in Loop: Header=BB37_24 Depth=1
	v_mul_hi_u32 v2, s4, v9
	v_add3_u32 v2, v8, v2, -1
	v_lshrrev_b32_e32 v4, s27, v2
	v_mad_u64_u32 v[2:3], s[34:35], s5, v4, v[8:9]
	global_store_byte v4, v2, s[12:13]
	s_or_b64 exec, exec, s[10:11]
	v_cmp_eq_u32_e32 vcc, s6, v5
	s_and_saveexec_b64 s[10:11], vcc
	s_cbranch_execz .LBB37_23
.LBB37_55:                              ;   in Loop: Header=BB37_24 Depth=1
	v_mul_hi_u32 v2, s4, v8
	v_add_u32_e32 v2, v8, v2
	v_lshrrev_b32_e32 v4, s27, v2
	v_mad_u64_u32 v[2:3], s[34:35], s5, v4, v[8:9]
	v_add_u16_e32 v2, 1, v2
	global_store_byte v4, v2, s[12:13]
	s_branch .LBB37_23
.LBB37_56:
	s_or_b64 exec, exec, s[16:17]
	s_cmp_lt_i32 s9, 4
	v_mov_b32_e32 v5, 0
	s_waitcnt lgkmcnt(0)
	s_barrier
	s_cbranch_scc1 .LBB37_61
; %bb.57:
	s_ashr_i32 s0, s9, 31
	s_lshr_b32 s0, s0, 30
	s_add_i32 s0, s9, s0
	s_ashr_i32 s4, s0, 2
	s_add_i32 s0, s4, 0x1ff
	s_lshr_b32 s0, s0, 9
	v_mbcnt_lo_u32_b32 v2, -1, 0
	v_mbcnt_hi_u32_b32 v2, -1, v2
	s_max_u32 s5, s0, 1
	v_lshlrev_b32_e32 v2, 2, v2
	s_add_u32 s0, s2, s7
	v_xor_b32_e32 v4, 4, v2
	v_xor_b32_e32 v6, 8, v2
	;; [unrolled: 1-line block ×6, first 2 shown]
	v_lshlrev_b32_e32 v2, 2, v0
	s_addc_u32 s1, s3, s26
	v_mov_b32_e32 v3, s1
	v_add_co_u32_e32 v2, vcc, s0, v2
	v_mov_b32_e32 v1, 0
	v_addc_co_u32_e32 v3, vcc, 0, v3, vcc
	s_movk_i32 s2, 0xff
	v_mov_b32_e32 v11, v0
	v_mov_b32_e32 v5, 0
	s_branch .LBB37_59
.LBB37_58:                              ;   in Loop: Header=BB37_59 Depth=1
	s_or_b64 exec, exec, s[0:1]
	s_waitcnt vmcnt(0)
	v_lshrrev_b32_e32 v13, 8, v12
	v_cmp_ne_u16_sdwa s[0:1], v13, v1 src0_sel:BYTE_0 src1_sel:DWORD
	v_cndmask_b32_e64 v13, 0, 1, s[0:1]
	v_cmp_ne_u16_sdwa vcc, v12, v1 src0_sel:BYTE_0 src1_sel:DWORD
	v_addc_co_u32_e32 v13, vcc, 0, v13, vcc
	v_and_b32_sdwa v14, v12, s2 dst_sel:DWORD dst_unused:UNUSED_PAD src0_sel:WORD_1 src1_sel:DWORD
	v_cmp_ne_u16_e32 vcc, 0, v14
	v_cndmask_b32_e64 v14, 0, 1, vcc
	v_cmp_ne_u16_sdwa vcc, v12, v1 src0_sel:BYTE_3 src1_sel:DWORD
	v_addc_co_u32_e32 v12, vcc, v13, v14, vcc
	ds_bpermute_b32 v13, v4, v12
	s_add_i32 s5, s5, -1
	v_add_co_u32_e32 v2, vcc, 0x800, v2
	v_addc_co_u32_e32 v3, vcc, 0, v3, vcc
	s_waitcnt lgkmcnt(0)
	v_add_u32_e32 v12, v12, v13
	ds_bpermute_b32 v13, v6, v12
	s_cmp_eq_u32 s5, 0
	v_add_u32_e32 v11, 0x200, v11
	s_waitcnt lgkmcnt(0)
	v_add_u32_e32 v12, v12, v13
	ds_bpermute_b32 v13, v7, v12
	s_waitcnt lgkmcnt(0)
	v_add_u32_e32 v12, v12, v13
	ds_bpermute_b32 v13, v8, v12
	;; [unrolled: 3-line block ×4, first 2 shown]
	s_waitcnt lgkmcnt(0)
	v_add3_u32 v5, v13, v5, v12
	s_cbranch_scc1 .LBB37_61
.LBB37_59:                              ; =>This Inner Loop Header: Depth=1
	v_cmp_gt_i32_e32 vcc, s4, v11
	v_mov_b32_e32 v12, 0
	s_and_saveexec_b64 s[0:1], vcc
	s_cbranch_execz .LBB37_58
; %bb.60:                               ;   in Loop: Header=BB37_59 Depth=1
	global_load_dword v12, v[2:3], off
	s_branch .LBB37_58
.LBB37_61:
	v_and_b32_e32 v1, 63, v0
	v_cmp_eq_u32_e32 vcc, 0, v1
	s_and_saveexec_b64 s[0:1], vcc
	s_cbranch_execz .LBB37_63
; %bb.62:
	v_lshrrev_b32_e32 v1, 4, v0
	v_and_b32_e32 v1, 60, v1
	ds_write_b32 v1, v5
.LBB37_63:
	s_or_b64 exec, exec, s[0:1]
	v_cmp_eq_u32_e32 vcc, 0, v0
	s_waitcnt lgkmcnt(0)
	s_barrier
	s_and_saveexec_b64 s[0:1], vcc
	s_cbranch_execz .LBB37_65
; %bb.64:
	v_mov_b32_e32 v8, 0
	ds_read_b128 v[0:3], v8
	ds_read_b128 v[4:7], v8 offset:16
	s_ashr_i32 s7, s6, 31
	s_lshl_b64 s[0:1], s[6:7], 2
	s_add_u32 s0, s14, s0
	s_waitcnt lgkmcnt(1)
	v_add_u32_e32 v0, v1, v0
	v_add_u32_e32 v0, v0, v2
	;; [unrolled: 1-line block ×3, first 2 shown]
	s_waitcnt lgkmcnt(0)
	v_add_u32_e32 v0, v0, v4
	v_add_u32_e32 v0, v0, v5
	;; [unrolled: 1-line block ×4, first 2 shown]
	s_addc_u32 s1, s15, s1
	global_store_dword v8, v0, s[0:1]
.LBB37_65:
	s_endpgm
	.section	.rodata,"a",@progbits
	.p2align	6, 0x0
	.amdhsa_kernel _ZN5aiter22opus_moe_sorting_entryINS_32MoeSortingMultiPhaseKernel_P0_v2INS_19MoeSortingProblemMpIifhLi4ELb1ELb0ELb1EEEEENS4_5KargsEEEvT0_
		.amdhsa_group_segment_fixed_size 32
		.amdhsa_private_segment_fixed_size 0
		.amdhsa_kernarg_size 72
		.amdhsa_user_sgpr_count 6
		.amdhsa_user_sgpr_private_segment_buffer 1
		.amdhsa_user_sgpr_dispatch_ptr 0
		.amdhsa_user_sgpr_queue_ptr 0
		.amdhsa_user_sgpr_kernarg_segment_ptr 1
		.amdhsa_user_sgpr_dispatch_id 0
		.amdhsa_user_sgpr_flat_scratch_init 0
		.amdhsa_user_sgpr_kernarg_preload_length 0
		.amdhsa_user_sgpr_kernarg_preload_offset 0
		.amdhsa_user_sgpr_private_segment_size 0
		.amdhsa_uses_dynamic_stack 0
		.amdhsa_system_sgpr_private_segment_wavefront_offset 0
		.amdhsa_system_sgpr_workgroup_id_x 1
		.amdhsa_system_sgpr_workgroup_id_y 0
		.amdhsa_system_sgpr_workgroup_id_z 0
		.amdhsa_system_sgpr_workgroup_info 0
		.amdhsa_system_vgpr_workitem_id 0
		.amdhsa_next_free_vgpr 32
		.amdhsa_next_free_sgpr 36
		.amdhsa_accum_offset 32
		.amdhsa_reserve_vcc 1
		.amdhsa_reserve_flat_scratch 0
		.amdhsa_float_round_mode_32 0
		.amdhsa_float_round_mode_16_64 0
		.amdhsa_float_denorm_mode_32 3
		.amdhsa_float_denorm_mode_16_64 3
		.amdhsa_dx10_clamp 1
		.amdhsa_ieee_mode 1
		.amdhsa_fp16_overflow 0
		.amdhsa_tg_split 0
		.amdhsa_exception_fp_ieee_invalid_op 0
		.amdhsa_exception_fp_denorm_src 0
		.amdhsa_exception_fp_ieee_div_zero 0
		.amdhsa_exception_fp_ieee_overflow 0
		.amdhsa_exception_fp_ieee_underflow 0
		.amdhsa_exception_fp_ieee_inexact 0
		.amdhsa_exception_int_div_zero 0
	.end_amdhsa_kernel
	.section	.text._ZN5aiter22opus_moe_sorting_entryINS_32MoeSortingMultiPhaseKernel_P0_v2INS_19MoeSortingProblemMpIifhLi4ELb1ELb0ELb1EEEEENS4_5KargsEEEvT0_,"axG",@progbits,_ZN5aiter22opus_moe_sorting_entryINS_32MoeSortingMultiPhaseKernel_P0_v2INS_19MoeSortingProblemMpIifhLi4ELb1ELb0ELb1EEEEENS4_5KargsEEEvT0_,comdat
.Lfunc_end37:
	.size	_ZN5aiter22opus_moe_sorting_entryINS_32MoeSortingMultiPhaseKernel_P0_v2INS_19MoeSortingProblemMpIifhLi4ELb1ELb0ELb1EEEEENS4_5KargsEEEvT0_, .Lfunc_end37-_ZN5aiter22opus_moe_sorting_entryINS_32MoeSortingMultiPhaseKernel_P0_v2INS_19MoeSortingProblemMpIifhLi4ELb1ELb0ELb1EEEEENS4_5KargsEEEvT0_
                                        ; -- End function
	.section	.AMDGPU.csdata,"",@progbits
; Kernel info:
; codeLenInByte = 3136
; NumSgprs: 40
; NumVgprs: 32
; NumAgprs: 0
; TotalNumVgprs: 32
; ScratchSize: 0
; MemoryBound: 0
; FloatMode: 240
; IeeeMode: 1
; LDSByteSize: 32 bytes/workgroup (compile time only)
; SGPRBlocks: 4
; VGPRBlocks: 3
; NumSGPRsForWavesPerEU: 40
; NumVGPRsForWavesPerEU: 32
; AccumOffset: 32
; Occupancy: 8
; WaveLimiterHint : 0
; COMPUTE_PGM_RSRC2:SCRATCH_EN: 0
; COMPUTE_PGM_RSRC2:USER_SGPR: 6
; COMPUTE_PGM_RSRC2:TRAP_HANDLER: 0
; COMPUTE_PGM_RSRC2:TGID_X_EN: 1
; COMPUTE_PGM_RSRC2:TGID_Y_EN: 0
; COMPUTE_PGM_RSRC2:TGID_Z_EN: 0
; COMPUTE_PGM_RSRC2:TIDIG_COMP_CNT: 0
; COMPUTE_PGM_RSRC3_GFX90A:ACCUM_OFFSET: 7
; COMPUTE_PGM_RSRC3_GFX90A:TG_SPLIT: 0
	.section	.text._ZN5aiter22opus_moe_sorting_entryINS_30MoeSortingMultiPhaseKernel_P23INS_19MoeSortingProblemMpIifhLi16ELb1ELb0ELb1EEEEENS4_5KargsEEEvT0_,"axG",@progbits,_ZN5aiter22opus_moe_sorting_entryINS_30MoeSortingMultiPhaseKernel_P23INS_19MoeSortingProblemMpIifhLi16ELb1ELb0ELb1EEEEENS4_5KargsEEEvT0_,comdat
	.protected	_ZN5aiter22opus_moe_sorting_entryINS_30MoeSortingMultiPhaseKernel_P23INS_19MoeSortingProblemMpIifhLi16ELb1ELb0ELb1EEEEENS4_5KargsEEEvT0_ ; -- Begin function _ZN5aiter22opus_moe_sorting_entryINS_30MoeSortingMultiPhaseKernel_P23INS_19MoeSortingProblemMpIifhLi16ELb1ELb0ELb1EEEEENS4_5KargsEEEvT0_
	.globl	_ZN5aiter22opus_moe_sorting_entryINS_30MoeSortingMultiPhaseKernel_P23INS_19MoeSortingProblemMpIifhLi16ELb1ELb0ELb1EEEEENS4_5KargsEEEvT0_
	.p2align	8
	.type	_ZN5aiter22opus_moe_sorting_entryINS_30MoeSortingMultiPhaseKernel_P23INS_19MoeSortingProblemMpIifhLi16ELb1ELb0ELb1EEEEENS4_5KargsEEEvT0_,@function
_ZN5aiter22opus_moe_sorting_entryINS_30MoeSortingMultiPhaseKernel_P23INS_19MoeSortingProblemMpIifhLi16ELb1ELb0ELb1EEEEENS4_5KargsEEEvT0_: ; @_ZN5aiter22opus_moe_sorting_entryINS_30MoeSortingMultiPhaseKernel_P23INS_19MoeSortingProblemMpIifhLi16ELb1ELb0ELb1EEEEENS4_5KargsEEEvT0_
; %bb.0:
	s_load_dwordx4 s[52:55], s[4:5], 0x60
	s_load_dwordx16 s[36:51], s[4:5], 0x20
	s_mov_b64 s[0:1], -1
	s_waitcnt lgkmcnt(0)
	s_cmp_lt_i32 s6, s53
	s_cbranch_scc1 .LBB38_5
; %bb.1:
	s_load_dwordx2 s[0:1], s[4:5], 0x84
	s_sub_i32 s7, s6, s53
	v_lshl_add_u32 v2, s7, 8, v0
	v_mov_b32_e32 v3, 0
	s_waitcnt lgkmcnt(0)
	s_ashr_i32 s2, s0, 31
	s_mul_hi_i32 s3, s1, s52
	s_mul_i32 s1, s1, s52
	s_mul_i32 s2, s1, s2
	s_mul_hi_u32 s8, s1, s0
	s_add_i32 s2, s8, s2
	s_mul_i32 s3, s3, s0
	s_add_i32 s2, s2, s3
	s_mul_i32 s1, s1, s0
	s_ashr_i32 s0, s2, 31
	s_lshr_b32 s0, s0, 28
	s_add_u32 s0, s1, s0
	s_addc_u32 s1, s2, 0
	s_ashr_i64 s[2:3], s[0:1], 4
	v_cmp_gt_i64_e32 vcc, s[2:3], v[2:3]
	s_and_saveexec_b64 s[8:9], vcc
	s_cbranch_execz .LBB38_4
; %bb.2:
	s_load_dword s0, s[4:5], 0x90
	v_lshlrev_b64 v[4:5], 4, v[2:3]
	v_mov_b32_e32 v1, s49
	v_add_co_u32_e32 v8, vcc, s48, v4
	s_waitcnt lgkmcnt(0)
	s_sub_i32 s0, s0, s53
	s_lshl_b32 s10, s0, 8
	s_ashr_i32 s11, s10, 31
	s_lshl_b64 s[12:13], s[10:11], 4
	v_pk_mov_b32 v[6:7], v[2:3], v[2:3] op_sel:[0,1]
	v_addc_co_u32_e32 v9, vcc, v1, v5, vcc
	s_mov_b64 s[14:15], 0
	v_mov_b32_e32 v2, v3
	v_mov_b32_e32 v4, v3
	;; [unrolled: 1-line block ×5, first 2 shown]
.LBB38_3:                               ; =>This Inner Loop Header: Depth=1
	v_add_co_u32_e32 v6, vcc, s10, v6
	v_addc_co_u32_e32 v7, vcc, v7, v1, vcc
	global_store_dwordx4 v[8:9], v[2:5], off
	v_add_co_u32_e32 v8, vcc, s12, v8
	v_cmp_le_i64_e64 s[0:1], s[2:3], v[6:7]
	s_or_b64 s[14:15], s[0:1], s[14:15]
	v_addc_co_u32_e32 v9, vcc, v9, v10, vcc
	s_andn2_b64 exec, exec, s[14:15]
	s_cbranch_execnz .LBB38_3
.LBB38_4:
	s_or_b64 exec, exec, s[8:9]
	s_mov_b64 s[0:1], 0
.LBB38_5:
	s_andn2_b64 vcc, exec, s[0:1]
	s_cbranch_vccnz .LBB38_92
; %bb.6:
	s_load_dwordx4 s[28:31], s[4:5], 0x70
	s_load_dwordx4 s[56:59], s[4:5], 0x0
	s_load_dwordx2 s[20:21], s[4:5], 0x10
	s_lshl_b32 s0, s53, 2
	s_add_i32 s7, s0, 0
	s_add_i32 s7, s7, 48
	s_waitcnt lgkmcnt(0)
	s_mov_b32 s31, 0
	v_lshrrev_b32_e32 v8, 6, v0
	s_cmp_lt_i32 s53, 1
	v_and_b32_e32 v10, 63, v0
	s_cbranch_scc1 .LBB38_29
; %bb.7:
	s_add_i32 s0, s53, 0xff
	s_lshr_b32 s33, s0, 8
	s_add_i32 s60, s55, -1
	v_mbcnt_lo_u32_b32 v2, -1, 0
	v_mbcnt_hi_u32_b32 v2, -1, v2
	s_cmp_lg_u64 s[50:51], 0
	v_lshlrev_b32_e32 v3, 2, v2
	s_cselect_b64 s[16:17], -1, 0
	s_movk_i32 s14, 0xff
	v_and_b32_e32 v3, 0xc0, v3
	v_cmp_lt_u32_e64 s[0:1], 15, v2
	v_cmp_lt_u32_e64 s[2:3], 31, v2
	s_movk_i32 s10, 0x7f
	s_movk_i32 s12, 0xbf
	s_cmp_eq_u32 s6, 0
	v_cndmask_b32_e64 v2, 0, 1, s[16:17]
	v_mov_b32_e32 v1, 0
	v_add_u32_e32 v9, -4, v3
	v_add_u32_e32 v11, 0xffffffbc, v3
	v_cmp_eq_u32_e64 s[4:5], 63, v10
	v_lshl_add_u32 v12, v8, 2, 0
	v_cmp_gt_u32_e64 s[8:9], 64, v0
	v_cmp_lt_u32_e64 s[10:11], s10, v0
	v_cmp_lt_u32_e64 s[12:13], s12, v0
	v_cmp_eq_u32_e64 s[14:15], s14, v0
	s_cselect_b64 s[22:23], -1, 0
	s_add_i32 s61, s7, 4
	v_cmp_ne_u32_e64 s[16:17], 1, v2
	v_mov_b32_e32 v13, 0
	v_mov_b32_e32 v3, 0
.LBB38_8:                               ; =>This Loop Header: Depth=1
                                        ;     Child Loop BB38_21 Depth 2
                                        ;     Child Loop BB38_26 Depth 2
	v_lshl_add_u32 v6, s31, 8, v0
	v_cmp_gt_i32_e32 vcc, s53, v6
	v_mov_b32_e32 v5, 0
	v_mov_b32_e32 v2, 0
	s_and_saveexec_b64 s[24:25], vcc
	s_cbranch_execz .LBB38_10
; %bb.9:                                ;   in Loop: Header=BB38_8 Depth=1
	v_ashrrev_i32_e32 v7, 31, v6
	v_lshlrev_b64 v[4:5], 2, v[6:7]
	v_mov_b32_e32 v2, s39
	v_add_co_u32_e64 v14, s[18:19], s38, v4
	v_addc_co_u32_e64 v15, s[18:19], v2, v5, s[18:19]
	v_mov_b32_e32 v2, s21
	v_add_co_u32_e64 v4, s[18:19], s20, v4
	v_addc_co_u32_e64 v5, s[18:19], v2, v5, s[18:19]
	global_load_dword v2, v[14:15], off
	s_nop 0
	global_load_dword v5, v[4:5], off
.LBB38_10:                              ;   in Loop: Header=BB38_8 Depth=1
	s_or_b64 exec, exec, s[24:25]
	s_waitcnt vmcnt(1)
	v_add_u32_e32 v2, s60, v2
	v_mul_hi_u32 v4, v2, s28
	v_add_u32_e32 v2, v2, v4
	v_lshrrev_b32_e32 v14, s29, v2
	s_waitcnt vmcnt(0)
	v_cmp_eq_u32_e64 s[18:19], 0, v5
	v_cndmask_b32_e64 v7, v14, 0, s[18:19]
	v_add_u32_dpp v19, v5, v5 row_shr:1 row_mask:0xf bank_mask:0xf bound_ctrl:1
	s_nop 0
	v_mov_b32_dpp v15, v7 row_shr:1 row_mask:0xf bank_mask:0xf bound_ctrl:1
	v_add_u32_e32 v2, v7, v15
	v_add_u32_dpp v19, v19, v19 row_shr:2 row_mask:0xf bank_mask:0xf bound_ctrl:1
	s_barrier
	v_mov_b32_dpp v16, v2 row_shr:2 row_mask:0xf bank_mask:0xf bound_ctrl:1
	v_add_u32_e32 v2, v2, v16
	v_add_u32_dpp v19, v19, v19 row_shr:4 row_mask:0xf bank_mask:0xf bound_ctrl:1
	s_nop 0
	v_mov_b32_dpp v17, v2 row_shr:4 row_mask:0xf bank_mask:0xf bound_ctrl:1
	v_add_u32_e32 v2, v2, v17
	v_add_u32_dpp v20, v19, v19 row_shr:8 row_mask:0xf bank_mask:0xf bound_ctrl:1
	ds_bpermute_b32 v21, v9, v20
	v_mov_b32_dpp v18, v2 row_shr:8 row_mask:0xf bank_mask:0xf bound_ctrl:1
	v_add_u32_e32 v2, v2, v18
	ds_bpermute_b32 v4, v9, v2
	s_waitcnt lgkmcnt(1)
	v_cndmask_b32_e64 v21, 0, v21, s[0:1]
	v_add_u32_e32 v21, v21, v20
	ds_bpermute_b32 v22, v11, v21
	s_waitcnt lgkmcnt(1)
	v_cndmask_b32_e64 v19, 0, v4, s[0:1]
	;; [unrolled: 4-line block ×3, first 2 shown]
	v_cndmask_b32_e64 v4, 0, v22, s[2:3]
	v_add_u32_e32 v2, v2, v20
	v_add_u32_e32 v4, v4, v21
	s_and_saveexec_b64 s[24:25], s[4:5]
	s_cbranch_execz .LBB38_12
; %bb.11:                               ;   in Loop: Header=BB38_8 Depth=1
	ds_write2_b32 v12, v2, v4 offset0:4 offset1:8
.LBB38_12:                              ;   in Loop: Header=BB38_8 Depth=1
	s_or_b64 exec, exec, s[24:25]
	s_waitcnt lgkmcnt(0)
	s_barrier
	ds_read2_b32 v[22:23], v1 offset0:4 offset1:5
	ds_read2_b32 v[24:25], v1 offset0:8 offset1:9
	;; [unrolled: 1-line block ×3, first 2 shown]
	s_waitcnt lgkmcnt(2)
	v_cndmask_b32_e64 v21, v22, 0, s[8:9]
	s_waitcnt lgkmcnt(1)
	v_cndmask_b32_e64 v28, v24, 0, s[8:9]
	v_cndmask_b32_e64 v22, 0, v23, s[10:11]
	s_waitcnt lgkmcnt(0)
	v_cndmask_b32_e64 v23, 0, v26, s[12:13]
	v_add3_u32 v2, v2, v13, v21
	v_cndmask_b32_e64 v25, 0, v25, s[10:11]
	v_cndmask_b32_e64 v26, 0, v27, s[12:13]
	v_add3_u32 v24, v2, v22, v23
	v_add3_u32 v2, v4, v3, v28
	;; [unrolled: 1-line block ×3, first 2 shown]
	s_and_saveexec_b64 s[24:25], s[14:15]
	s_cbranch_execz .LBB38_14
; %bb.13:                               ;   in Loop: Header=BB38_8 Depth=1
	ds_write2_b32 v1, v24, v4 offset0:2 offset1:3
.LBB38_14:                              ;   in Loop: Header=BB38_8 Depth=1
	s_or_b64 exec, exec, s[24:25]
	s_waitcnt lgkmcnt(0)
	s_barrier
	ds_read2_b32 v[2:3], v1 offset0:2 offset1:3
	v_sub_u32_e32 v4, v4, v5
	s_and_saveexec_b64 s[24:25], vcc
	s_cbranch_execz .LBB38_17
; %bb.15:                               ;   in Loop: Header=BB38_8 Depth=1
	v_sub_u32_e32 v7, v24, v7
	v_mul_lo_u32 v7, v7, s55
	v_lshl_add_u32 v24, v6, 2, 0
	s_and_b64 vcc, exec, s[16:17]
	ds_write_b32 v24, v7 offset:48
	s_cbranch_vccnz .LBB38_17
; %bb.16:                               ;   in Loop: Header=BB38_8 Depth=1
	v_cndmask_b32_e64 v7, v4, -1, s[18:19]
	v_lshl_add_u32 v6, v6, 2, s61
	ds_write_b32 v6, v7
.LBB38_17:                              ;   in Loop: Header=BB38_8 Depth=1
	s_or_b64 exec, exec, s[24:25]
	v_cmp_ne_u32_e32 vcc, 0, v5
	s_and_b64 s[18:19], s[22:23], vcc
	v_cmp_lt_i32_e32 vcc, 0, v14
	s_and_b64 s[24:25], s[18:19], vcc
	s_and_saveexec_b64 s[18:19], s[24:25]
	s_cbranch_execz .LBB38_27
; %bb.18:                               ;   in Loop: Header=BB38_8 Depth=1
	v_cmp_gt_u32_e64 s[24:25], 10, v14
	v_cmp_lt_u32_e32 vcc, 9, v14
	v_mov_b32_e32 v24, 0
	s_and_saveexec_b64 s[26:27], vcc
	s_cbranch_execz .LBB38_24
; %bb.19:                               ;   in Loop: Header=BB38_8 Depth=1
	v_add_u32_e32 v5, v19, v20
	v_add3_u32 v5, v5, v22, v23
	v_add3_u32 v5, v5, v21, v15
	;; [unrolled: 1-line block ×4, first 2 shown]
	v_add3_u32 v5, v14, v6, -1
	v_cmp_ge_i32_e32 vcc, v5, v6
	s_mov_b64 s[48:49], -1
	v_mov_b32_e32 v24, 0
	s_and_saveexec_b64 s[34:35], vcc
	s_cbranch_execz .LBB38_23
; %bb.20:                               ;   in Loop: Header=BB38_8 Depth=1
	v_and_b32_e32 v24, 0x7ffffffe, v14
	v_mov_b32_e32 v5, v4
	s_mov_b64 s[48:49], 0
	v_mov_b32_e32 v25, v24
.LBB38_21:                              ;   Parent Loop BB38_8 Depth=1
                                        ; =>  This Inner Loop Header: Depth=2
	v_ashrrev_i32_e32 v7, 31, v6
	v_lshlrev_b64 v[26:27], 2, v[6:7]
	v_mov_b32_e32 v7, s43
	v_add_co_u32_e32 v26, vcc, s42, v26
	v_addc_co_u32_e32 v27, vcc, v7, v27, vcc
	v_add_u32_e32 v25, -2, v25
	v_cmp_eq_u32_e32 vcc, 0, v25
	s_or_b64 s[48:49], vcc, s[48:49]
	v_add_u32_e32 v6, 2, v6
	global_store_dwordx2 v[26:27], v[4:5], off
	s_andn2_b64 exec, exec, s[48:49]
	s_cbranch_execnz .LBB38_21
; %bb.22:                               ;   in Loop: Header=BB38_8 Depth=1
	s_or_b64 exec, exec, s[48:49]
	v_cmp_ne_u32_e32 vcc, v14, v24
	s_orn2_b64 s[48:49], vcc, exec
.LBB38_23:                              ;   in Loop: Header=BB38_8 Depth=1
	s_or_b64 exec, exec, s[34:35]
	s_andn2_b64 s[24:25], s[24:25], exec
	s_and_b64 s[34:35], s[48:49], exec
	s_or_b64 s[24:25], s[24:25], s[34:35]
.LBB38_24:                              ;   in Loop: Header=BB38_8 Depth=1
	s_or_b64 exec, exec, s[26:27]
	s_and_b64 exec, exec, s[24:25]
	s_cbranch_execz .LBB38_27
; %bb.25:                               ;   in Loop: Header=BB38_8 Depth=1
	v_add3_u32 v6, v13, v19, v20
	v_add3_u32 v6, v6, v22, v23
	;; [unrolled: 1-line block ×4, first 2 shown]
	v_sub_u32_e32 v5, v14, v24
	v_add3_u32 v6, v6, v18, v24
	s_mov_b64 s[24:25], 0
.LBB38_26:                              ;   Parent Loop BB38_8 Depth=1
                                        ; =>  This Inner Loop Header: Depth=2
	v_ashrrev_i32_e32 v7, 31, v6
	v_lshlrev_b64 v[14:15], 2, v[6:7]
	v_mov_b32_e32 v7, s43
	v_add_co_u32_e32 v14, vcc, s42, v14
	v_addc_co_u32_e32 v15, vcc, v7, v15, vcc
	v_add_u32_e32 v5, -1, v5
	v_cmp_eq_u32_e32 vcc, 0, v5
	s_or_b64 s[24:25], vcc, s[24:25]
	v_add_u32_e32 v6, 1, v6
	global_store_dword v[14:15], v4, off
	s_andn2_b64 exec, exec, s[24:25]
	s_cbranch_execnz .LBB38_26
.LBB38_27:                              ;   in Loop: Header=BB38_8 Depth=1
	s_or_b64 exec, exec, s[18:19]
	s_add_i32 s31, s31, 1
	s_cmp_eq_u32 s31, s33
	s_cbranch_scc1 .LBB38_30
; %bb.28:                               ;   in Loop: Header=BB38_8 Depth=1
	s_waitcnt lgkmcnt(0)
	v_mov_b32_e32 v13, v2
	s_branch .LBB38_8
.LBB38_29:
	v_mov_b32_e32 v2, 0
.LBB38_30:
	v_cmp_eq_u32_e32 vcc, 0, v0
	s_and_saveexec_b64 s[0:1], vcc
	s_cbranch_execz .LBB38_34
; %bb.31:
	s_cmp_lg_u32 s6, 0
	s_waitcnt lgkmcnt(0)
	v_mul_lo_u32 v2, v2, s55
	s_cbranch_scc1 .LBB38_33
; %bb.32:
	v_mov_b32_e32 v1, 0
	v_mov_b32_e32 v3, s52
	global_store_dwordx2 v1, v[2:3], s[40:41]
.LBB38_33:
	v_mov_b32_e32 v1, s7
	ds_write_b32 v1, v2
.LBB38_34:
	s_or_b64 exec, exec, s[0:1]
	s_cmp_eq_u64 s[50:51], 0
	s_cselect_b64 s[0:1], -1, 0
	s_cmp_lg_u32 s6, 0
	s_cselect_b64 s[2:3], -1, 0
	s_or_b64 s[0:1], s[2:3], s[0:1]
	s_and_b64 vcc, exec, s[0:1]
	s_waitcnt lgkmcnt(0)
	s_barrier
	s_cbranch_vccnz .LBB38_41
; %bb.35:
	s_mul_i32 s8, s30, s52
	v_cmp_gt_i32_e32 vcc, s8, v0
	s_and_saveexec_b64 s[2:3], vcc
	s_cbranch_execz .LBB38_40
; %bb.36:
	v_lshlrev_b32_e32 v1, 2, v0
	v_mov_b32_e32 v3, s57
	v_add_co_u32_e32 v2, vcc, s56, v1
	v_addc_co_u32_e32 v3, vcc, 0, v3, vcc
	v_mov_b32_e32 v5, s51
	v_add_co_u32_e32 v4, vcc, s50, v1
	s_add_i32 s7, s7, 4
	v_addc_co_u32_e32 v5, vcc, 0, v5, vcc
	s_mov_b64 s[4:5], 0
	v_mov_b32_e32 v1, v0
	s_branch .LBB38_38
.LBB38_37:                              ;   in Loop: Header=BB38_38 Depth=1
	s_or_b64 exec, exec, s[0:1]
	v_add_co_u32_e32 v2, vcc, 0x400, v2
	v_add_u32_e32 v1, 0x100, v1
	v_addc_co_u32_e32 v3, vcc, 0, v3, vcc
	s_waitcnt lgkmcnt(0)
	global_store_dword v[4:5], v7, off
	v_add_co_u32_e32 v4, vcc, 0x400, v4
	v_cmp_le_i32_e64 s[0:1], s8, v1
	s_or_b64 s[4:5], s[0:1], s[4:5]
	v_addc_co_u32_e32 v5, vcc, 0, v5, vcc
	s_andn2_b64 exec, exec, s[4:5]
	s_cbranch_execz .LBB38_40
.LBB38_38:                              ; =>This Inner Loop Header: Depth=1
	global_load_dword v6, v[2:3], off
	v_mov_b32_e32 v7, -1
	s_waitcnt vmcnt(0)
	v_cmp_lt_i32_e32 vcc, -1, v6
	v_cmp_gt_i32_e64 s[0:1], s53, v6
	s_and_b64 s[10:11], vcc, s[0:1]
	s_and_saveexec_b64 s[0:1], s[10:11]
	s_cbranch_execz .LBB38_37
; %bb.39:                               ;   in Loop: Header=BB38_38 Depth=1
	v_lshl_add_u32 v6, v6, 2, s7
	ds_read_b32 v7, v6
	s_branch .LBB38_37
.LBB38_40:
	s_or_b64 exec, exec, s[2:3]
.LBB38_41:
	s_lshl_b32 s0, s6, 2
	s_add_i32 s0, s0, 0
	v_mov_b32_e32 v1, s0
	ds_read2_b32 v[6:7], v1 offset0:12 offset1:13
	s_waitcnt lgkmcnt(0)
	v_cmp_eq_u32_e32 vcc, v6, v7
	s_cbranch_vccnz .LBB38_92
; %bb.42:
	s_ashr_i32 s7, s6, 31
	s_lshl_b64 s[0:1], s[6:7], 2
	s_add_u32 s0, s20, s0
	s_addc_u32 s1, s21, s1
	v_mov_b32_e32 v19, 0
	global_load_dword v1, v19, s[0:1]
	s_waitcnt vmcnt(0)
	v_cmp_eq_u32_e32 vcc, 0, v1
	s_cbranch_vccnz .LBB38_92
; %bb.43:
	s_cmp_lt_i32 s54, 16
	s_cbranch_scc1 .LBB38_84
; %bb.44:
	s_lshr_b32 s0, s54, 4
	s_addk_i32 s0, 0xff
	s_lshr_b32 s31, s0, 8
	s_add_i32 s0, s52, 15
	s_ashr_i32 s1, s0, 31
	s_lshr_b32 s1, s1, 28
	s_add_i32 s0, s0, s1
	s_ashr_i32 s33, s0, 4
	s_mul_i32 s0, s54, s6
	s_ashr_i32 s1, s0, 31
	v_mbcnt_lo_u32_b32 v2, -1, 0
	s_add_u32 s53, s36, s0
	v_mbcnt_hi_u32_b32 v2, -1, v2
	v_lshl_add_u32 v45, v8, 2, 0
	v_lshlrev_b32_e32 v8, 4, v0
	s_addc_u32 s60, s37, s1
	v_lshlrev_b32_e32 v3, 2, v2
	v_cmp_lt_u32_e32 vcc, 15, v2
	v_cmp_lt_u32_e64 s[0:1], 31, v2
	v_or_b32_e32 v2, 15, v8
	v_cmp_eq_u32_e64 s[2:3], 63, v10
	v_mad_u64_u32 v[10:11], s[12:13], s30, v2, -1
	v_or_b32_e32 v2, 14, v8
	v_mad_u64_u32 v[14:15], s[12:13], s30, v2, -1
	v_or_b32_e32 v2, 13, v8
	;; [unrolled: 2-line block ×13, first 2 shown]
	v_mad_u64_u32 v[38:39], s[12:13], s30, v2, -1
	v_mul_lo_u32 v2, s30, v8
	s_movk_i32 s10, 0xff
	v_and_b32_e32 v3, 0xc0, v3
	s_movk_i32 s6, 0x7f
	s_movk_i32 s8, 0xbf
	v_add3_u32 v11, v2, s30, -1
	v_mul_lo_u32 v2, v0, s30
	s_mov_b32 s61, 0
	v_mov_b32_e32 v1, 0
	v_add_u32_e32 v9, -4, v3
	v_add_u32_e32 v44, 0xffffffbc, v3
	v_cmp_gt_u32_e64 s[4:5], 64, v0
	v_cmp_lt_u32_e64 s[6:7], s6, v0
	v_cmp_lt_u32_e64 s[8:9], s8, v0
	v_cmp_eq_u32_e64 s[10:11], s10, v0
	s_lshl_b32 s62, s30, 12
	v_mov_b32_e32 v13, 0
	v_lshl_add_u32 v15, v2, 4, -1
	s_mov_b64 s[34:35], 0
	s_mov_b32 s63, 0xffff
	s_mov_b32 s64, 0x4020100
	v_mov_b32_e32 v17, v0
	v_mov_b32_e32 v19, 0
	s_branch .LBB38_46
.LBB38_45:                              ;   in Loop: Header=BB38_46 Depth=1
	s_or_b64 exec, exec, s[14:15]
	s_add_i32 s61, s61, s62
	s_add_u32 s34, s34, 0x1000
	s_addc_u32 s35, s35, 0
	s_add_i32 s31, s31, -1
	s_add_u32 s53, s53, 0x1000
	s_addc_u32 s60, s60, 0
	s_cmp_eq_u32 s31, 0
	v_add_u32_e32 v17, 0x100, v17
	s_cbranch_scc1 .LBB38_84
.LBB38_46:                              ; =>This Inner Loop Header: Depth=1
	v_cmp_gt_i32_e64 s[12:13], s33, v17
	v_mov_b32_e32 v2, 0
	v_mov_b32_e32 v3, 0
	;; [unrolled: 1-line block ×4, first 2 shown]
	s_and_saveexec_b64 s[14:15], s[12:13]
	s_cbranch_execz .LBB38_48
; %bb.47:                               ;   in Loop: Header=BB38_46 Depth=1
	v_mov_b32_e32 v3, s60
	v_add_co_u32_e64 v2, s[12:13], s53, v8
	v_addc_co_u32_e64 v3, s[12:13], 0, v3, s[12:13]
	global_load_dwordx4 v[2:5], v[2:3], off
.LBB38_48:                              ;   in Loop: Header=BB38_46 Depth=1
	s_or_b64 exec, exec, s[14:15]
	s_waitcnt vmcnt(0)
	v_lshrrev_b32_e32 v53, 8, v2
	v_cmp_ne_u16_sdwa s[56:57], v53, v1 src0_sel:BYTE_0 src1_sel:DWORD
	v_lshrrev_b32_e32 v51, 16, v2
	v_lshrrev_b64 v[42:43], 24, v[2:3]
	v_cndmask_b32_e64 v25, 0, 1, s[56:57]
	v_cmp_ne_u16_sdwa s[26:27], v2, v1 src0_sel:BYTE_0 src1_sel:DWORD
	v_cmp_ne_u16_sdwa s[54:55], v51, v1 src0_sel:BYTE_0 src1_sel:DWORD
	v_and_b32_e32 v50, 0xff, v42
	v_lshrrev_b32_e32 v46, 16, v3
	v_lshrrev_b32_e32 v47, 8, v3
	v_addc_co_u32_e64 v25, s[12:13], 0, v25, s[26:27]
	v_cndmask_b32_e64 v27, 0, 1, s[54:55]
	v_cmp_ne_u16_e64 s[24:25], 0, v50
	v_cmp_ne_u16_sdwa s[50:51], v3, v1 src0_sel:BYTE_0 src1_sel:DWORD
	v_addc_co_u32_e64 v25, s[12:13], v25, v27, s[24:25]
	v_cndmask_b32_e64 v27, 0, 1, s[50:51]
	v_cmp_ne_u16_sdwa s[22:23], v47, v1 src0_sel:BYTE_0 src1_sel:DWORD
	v_cmp_ne_u16_sdwa s[48:49], v46, v1 src0_sel:BYTE_0 src1_sel:DWORD
	v_addc_co_u32_e64 v25, s[12:13], v25, v27, s[22:23]
	v_cndmask_b32_e64 v27, 0, 1, s[48:49]
	v_cmp_ne_u16_sdwa s[20:21], v3, v1 src0_sel:BYTE_3 src1_sel:DWORD
	v_cmp_ne_u16_sdwa s[42:43], v4, v1 src0_sel:BYTE_0 src1_sel:DWORD
	v_lshrrev_b32_e32 v37, 8, v4
	v_lshrrev_b32_e32 v33, 16, v4
	v_lshrrev_b64 v[40:41], 24, v[4:5]
	v_addc_co_u32_e64 v25, s[12:13], v25, v27, s[20:21]
	v_cndmask_b32_e64 v27, 0, 1, s[42:43]
	v_cmp_ne_u16_sdwa s[18:19], v37, v1 src0_sel:BYTE_0 src1_sel:DWORD
	v_cmp_ne_u16_sdwa s[40:41], v33, v1 src0_sel:BYTE_0 src1_sel:DWORD
	v_and_b32_e32 v31, 0xff, v40
	v_lshrrev_b32_e32 v23, 8, v5
	v_addc_co_u32_e64 v25, s[12:13], v25, v27, s[18:19]
	v_cndmask_b32_e64 v27, 0, 1, s[40:41]
	v_cmp_ne_u16_e64 s[16:17], 0, v31
	v_cmp_ne_u16_sdwa s[38:39], v5, v1 src0_sel:BYTE_0 src1_sel:DWORD
	v_lshrrev_b32_e32 v21, 16, v5
	v_addc_co_u32_e64 v25, s[12:13], v25, v27, s[16:17]
	v_cndmask_b32_e64 v27, 0, 1, s[38:39]
	v_cmp_ne_u16_sdwa s[14:15], v23, v1 src0_sel:BYTE_0 src1_sel:DWORD
	v_addc_co_u32_e64 v25, s[12:13], v25, v27, s[14:15]
	v_cmp_ne_u16_sdwa s[36:37], v21, v1 src0_sel:BYTE_0 src1_sel:DWORD
	v_cndmask_b32_e64 v27, 0, 1, s[36:37]
	v_cmp_ne_u16_sdwa s[12:13], v5, v1 src0_sel:BYTE_3 src1_sel:DWORD
	v_addc_co_u32_e64 v55, s[28:29], v25, v27, s[12:13]
	v_and_b32_e32 v12, 0xff, v2
	s_nop 0
	v_add_u32_dpp v25, v55, v55 row_shr:1 row_mask:0xf bank_mask:0xf bound_ctrl:1
	v_and_b32_e32 v54, 0xff, v53
	v_and_b32_e32 v52, 0xff, v51
	v_add_u32_dpp v25, v25, v25 row_shr:2 row_mask:0xf bank_mask:0xf bound_ctrl:1
	v_and_b32_e32 v49, 0xff, v3
	v_and_b32_e32 v48, 0xff, v47
	v_add_u32_dpp v25, v25, v25 row_shr:4 row_mask:0xf bank_mask:0xf bound_ctrl:1
	v_and_b32_e32 v43, 0xff, v46
	v_and_b32_e32 v41, 0xff, v4
	v_add_u32_dpp v25, v25, v25 row_shr:8 row_mask:0xf bank_mask:0xf bound_ctrl:1
	ds_bpermute_b32 v27, v9, v25
	v_and_b32_e32 v39, 0xff, v37
	v_and_b32_e32 v35, 0xff, v33
	v_and_b32_e32 v29, 0xff, v5
	s_waitcnt lgkmcnt(0)
	v_cndmask_b32_e32 v27, 0, v27, vcc
	v_add_u32_e32 v56, v25, v27
	ds_bpermute_b32 v57, v44, v56
	v_and_b32_e32 v27, 0xff, v23
	v_and_b32_e32 v25, 0xff, v21
	s_barrier
	s_waitcnt lgkmcnt(0)
	v_cndmask_b32_e64 v57, 0, v57, s[0:1]
	v_add_u32_e32 v56, v56, v57
	s_and_saveexec_b64 s[28:29], s[2:3]
	s_cbranch_execz .LBB38_50
; %bb.49:                               ;   in Loop: Header=BB38_46 Depth=1
	ds_write_b32 v45, v56 offset:16
.LBB38_50:                              ;   in Loop: Header=BB38_46 Depth=1
	s_or_b64 exec, exec, s[28:29]
	s_waitcnt lgkmcnt(0)
	s_barrier
	ds_read2_b32 v[58:59], v1 offset0:4 offset1:5
	ds_read_b32 v57, v1 offset:24
	s_waitcnt lgkmcnt(1)
	v_cndmask_b32_e64 v58, v58, 0, s[4:5]
	v_cndmask_b32_e64 v59, 0, v59, s[6:7]
	s_waitcnt lgkmcnt(0)
	v_cndmask_b32_e64 v57, 0, v57, s[8:9]
	v_add3_u32 v19, v56, v19, v58
	v_add3_u32 v56, v19, v59, v57
	s_and_saveexec_b64 s[28:29], s[10:11]
	s_cbranch_execz .LBB38_52
; %bb.51:                               ;   in Loop: Header=BB38_46 Depth=1
	ds_write_b32 v1, v56
.LBB38_52:                              ;   in Loop: Header=BB38_46 Depth=1
	s_or_b64 exec, exec, s[28:29]
	s_waitcnt lgkmcnt(0)
	s_barrier
	ds_read_b32 v19, v1
	v_sub_u32_e32 v56, v56, v55
	v_mov_b32_e32 v55, 0
	v_mov_b32_e32 v57, 0
	s_and_saveexec_b64 s[28:29], s[26:27]
	s_cbranch_execz .LBB38_54
; %bb.53:                               ;   in Loop: Header=BB38_46 Depth=1
	v_add3_u32 v12, v15, s61, v12
	v_lshlrev_b64 v[58:59], 2, v[12:13]
	v_mov_b32_e32 v12, s59
	v_add_co_u32_e64 v58, s[26:27], s58, v58
	v_addc_co_u32_e64 v59, s[26:27], v12, v59, s[26:27]
	global_load_dword v12, v[58:59], off
	v_add_u32_e32 v58, v56, v6
	v_ashrrev_i32_e32 v59, 31, v58
	v_add_u32_e32 v57, s34, v8
	v_lshlrev_b64 v[58:59], 2, v[58:59]
	v_mov_b32_e32 v61, s45
	v_and_b32_e32 v57, 0xfffff0, v57
	v_add_co_u32_e64 v60, s[26:27], s44, v58
	v_lshl_or_b32 v2, v2, 24, v57
	v_addc_co_u32_e64 v61, s[26:27], v61, v59, s[26:27]
	v_mov_b32_e32 v62, s47
	v_add_u32_e32 v2, 0xff000000, v2
	v_add_co_u32_e64 v58, s[26:27], s46, v58
	v_mov_b32_e32 v57, 1
	v_addc_co_u32_e64 v59, s[26:27], v62, v59, s[26:27]
	global_store_dword v[60:61], v2, off
	s_waitcnt vmcnt(1)
	global_store_dword v[58:59], v12, off
.LBB38_54:                              ;   in Loop: Header=BB38_46 Depth=1
	s_or_b64 exec, exec, s[28:29]
	v_add_u32_e32 v2, v57, v56
	s_and_saveexec_b64 s[28:29], s[56:57]
	s_cbranch_execz .LBB38_56
; %bb.55:                               ;   in Loop: Header=BB38_46 Depth=1
	v_add3_u32 v12, v11, s61, v54
	v_lshlrev_b64 v[54:55], 2, v[12:13]
	v_mov_b32_e32 v12, s59
	v_add_co_u32_e64 v54, s[26:27], s58, v54
	v_addc_co_u32_e64 v55, s[26:27], v12, v55, s[26:27]
	global_load_dword v12, v[54:55], off
	v_add_u32_e32 v56, v2, v6
	v_add3_u32 v54, v8, s34, 1
	v_ashrrev_i32_e32 v57, 31, v56
	v_and_b32_e32 v54, 0xfffff1, v54
	v_lshlrev_b64 v[56:57], 2, v[56:57]
	v_lshl_or_b32 v53, v53, 24, v54
	v_mov_b32_e32 v54, s45
	v_add_co_u32_e64 v58, s[26:27], s44, v56
	v_add_u32_e32 v53, 0xff000000, v53
	v_addc_co_u32_e64 v59, s[26:27], v54, v57, s[26:27]
	global_store_dword v[58:59], v53, off
	v_mov_b32_e32 v53, s47
	v_add_co_u32_e64 v56, s[26:27], s46, v56
	v_mov_b32_e32 v55, 1
	v_addc_co_u32_e64 v57, s[26:27], v53, v57, s[26:27]
	s_waitcnt vmcnt(1)
	global_store_dword v[56:57], v12, off
.LBB38_56:                              ;   in Loop: Header=BB38_46 Depth=1
	s_or_b64 exec, exec, s[28:29]
	v_add_u32_e32 v53, v55, v2
	v_mov_b32_e32 v2, 0
	v_mov_b32_e32 v12, 0
	s_and_saveexec_b64 s[28:29], s[54:55]
	s_cbranch_execz .LBB38_58
; %bb.57:                               ;   in Loop: Header=BB38_46 Depth=1
	v_add3_u32 v12, v38, s61, v52
	v_lshlrev_b64 v[54:55], 2, v[12:13]
	v_mov_b32_e32 v12, s59
	v_add_co_u32_e64 v54, s[26:27], s58, v54
	v_addc_co_u32_e64 v55, s[26:27], v12, v55, s[26:27]
	global_load_dword v12, v[54:55], off
	v_add_u32_e32 v54, v53, v6
	v_ashrrev_i32_e32 v55, 31, v54
	v_add3_u32 v52, v8, s34, 2
	v_lshlrev_b64 v[54:55], 2, v[54:55]
	v_mov_b32_e32 v57, s45
	v_and_b32_e32 v52, 0xfffff2, v52
	v_add_co_u32_e64 v56, s[26:27], s44, v54
	v_lshl_or_b32 v51, v51, 24, v52
	v_addc_co_u32_e64 v57, s[26:27], v57, v55, s[26:27]
	v_mov_b32_e32 v58, s47
	v_add_u32_e32 v51, 0xff000000, v51
	v_add_co_u32_e64 v54, s[26:27], s46, v54
	v_addc_co_u32_e64 v55, s[26:27], v58, v55, s[26:27]
	global_store_dword v[56:57], v51, off
	s_waitcnt vmcnt(1)
	global_store_dword v[54:55], v12, off
	v_mov_b32_e32 v12, 1
.LBB38_58:                              ;   in Loop: Header=BB38_46 Depth=1
	s_or_b64 exec, exec, s[28:29]
	v_add_u32_e32 v51, v12, v53
	s_and_saveexec_b64 s[26:27], s[24:25]
	s_cbranch_execz .LBB38_60
; %bb.59:                               ;   in Loop: Header=BB38_46 Depth=1
	v_add3_u32 v12, v36, s61, v50
	v_lshlrev_b64 v[52:53], 2, v[12:13]
	v_mov_b32_e32 v2, s59
	v_add_co_u32_e64 v52, s[24:25], s58, v52
	v_addc_co_u32_e64 v53, s[24:25], v2, v53, s[24:25]
	global_load_dword v2, v[52:53], off
	v_add_u32_e32 v52, v51, v6
	v_ashrrev_i32_e32 v53, 31, v52
	v_add3_u32 v12, v8, s34, 3
	v_lshlrev_b64 v[52:53], 2, v[52:53]
	v_mov_b32_e32 v50, s45
	v_and_b32_e32 v12, 0xfffff3, v12
	v_add_co_u32_e64 v54, s[24:25], s44, v52
	v_lshl_or_b32 v12, v42, 24, v12
	v_addc_co_u32_e64 v55, s[24:25], v50, v53, s[24:25]
	v_mov_b32_e32 v56, s47
	v_add_u32_e32 v12, 0xff000000, v12
	v_add_co_u32_e64 v52, s[24:25], s46, v52
	v_addc_co_u32_e64 v53, s[24:25], v56, v53, s[24:25]
	global_store_dword v[54:55], v12, off
	s_waitcnt vmcnt(1)
	global_store_dword v[52:53], v2, off
	v_mov_b32_e32 v2, 1
.LBB38_60:                              ;   in Loop: Header=BB38_46 Depth=1
	s_or_b64 exec, exec, s[26:27]
	v_add_u32_e32 v42, v2, v51
	v_mov_b32_e32 v2, 0
	v_mov_b32_e32 v12, 0
	s_and_saveexec_b64 s[26:27], s[50:51]
	s_cbranch_execz .LBB38_62
; %bb.61:                               ;   in Loop: Header=BB38_46 Depth=1
	v_add3_u32 v12, v34, s61, v49
	v_lshlrev_b64 v[50:51], 2, v[12:13]
	v_mov_b32_e32 v12, s59
	v_add_co_u32_e64 v50, s[24:25], s58, v50
	v_addc_co_u32_e64 v51, s[24:25], v12, v51, s[24:25]
	global_load_dword v12, v[50:51], off
	v_add_u32_e32 v50, v42, v6
	v_ashrrev_i32_e32 v51, 31, v50
	v_add3_u32 v49, v8, s34, 4
	v_lshlrev_b64 v[50:51], 2, v[50:51]
	v_mov_b32_e32 v53, s45
	v_and_b32_e32 v49, 0xfffff4, v49
	v_add_co_u32_e64 v52, s[24:25], s44, v50
	v_lshl_or_b32 v49, v3, 24, v49
	v_addc_co_u32_e64 v53, s[24:25], v53, v51, s[24:25]
	v_mov_b32_e32 v54, s47
	v_add_u32_e32 v49, 0xff000000, v49
	v_add_co_u32_e64 v50, s[24:25], s46, v50
	v_addc_co_u32_e64 v51, s[24:25], v54, v51, s[24:25]
	global_store_dword v[52:53], v49, off
	s_waitcnt vmcnt(1)
	global_store_dword v[50:51], v12, off
	v_mov_b32_e32 v12, 1
.LBB38_62:                              ;   in Loop: Header=BB38_46 Depth=1
	s_or_b64 exec, exec, s[26:27]
	v_add_u32_e32 v42, v12, v42
	s_and_saveexec_b64 s[24:25], s[22:23]
	s_cbranch_execz .LBB38_64
; %bb.63:                               ;   in Loop: Header=BB38_46 Depth=1
	v_add3_u32 v12, v32, s61, v48
	v_lshlrev_b64 v[48:49], 2, v[12:13]
	v_mov_b32_e32 v2, s59
	v_add_co_u32_e64 v48, s[22:23], s58, v48
	v_addc_co_u32_e64 v49, s[22:23], v2, v49, s[22:23]
	global_load_dword v2, v[48:49], off
	v_add_u32_e32 v48, v42, v6
	v_ashrrev_i32_e32 v49, 31, v48
	v_add3_u32 v12, v8, s34, 5
	v_lshlrev_b64 v[48:49], 2, v[48:49]
	v_mov_b32_e32 v51, s45
	v_and_b32_e32 v12, 0xfffff5, v12
	v_add_co_u32_e64 v50, s[22:23], s44, v48
	v_lshl_or_b32 v12, v47, 24, v12
	v_addc_co_u32_e64 v51, s[22:23], v51, v49, s[22:23]
	v_mov_b32_e32 v52, s47
	v_add_u32_e32 v12, 0xff000000, v12
	v_add_co_u32_e64 v48, s[22:23], s46, v48
	v_addc_co_u32_e64 v49, s[22:23], v52, v49, s[22:23]
	global_store_dword v[50:51], v12, off
	s_waitcnt vmcnt(1)
	global_store_dword v[48:49], v2, off
	v_mov_b32_e32 v2, 1
.LBB38_64:                              ;   in Loop: Header=BB38_46 Depth=1
	s_or_b64 exec, exec, s[24:25]
	v_add_u32_e32 v42, v2, v42
	v_mov_b32_e32 v2, 0
	v_mov_b32_e32 v12, 0
	s_and_saveexec_b64 s[24:25], s[48:49]
	s_cbranch_execz .LBB38_66
; %bb.65:                               ;   in Loop: Header=BB38_46 Depth=1
	v_add3_u32 v12, v30, s61, v43
	v_lshlrev_b64 v[48:49], 2, v[12:13]
	v_mov_b32_e32 v12, s59
	v_add_co_u32_e64 v48, s[22:23], s58, v48
	v_addc_co_u32_e64 v49, s[22:23], v12, v49, s[22:23]
	global_load_dword v12, v[48:49], off
	v_add3_u32 v43, v8, s34, 6
	v_add_u32_e32 v48, v42, v6
	v_and_b32_e32 v43, 0xfffff6, v43
	v_ashrrev_i32_e32 v49, 31, v48
	v_lshl_or_b32 v43, v46, 24, v43
	v_lshlrev_b64 v[46:47], 2, v[48:49]
	v_mov_b32_e32 v50, s45
	v_add_co_u32_e64 v48, s[22:23], s44, v46
	v_addc_co_u32_e64 v49, s[22:23], v50, v47, s[22:23]
	v_mov_b32_e32 v51, s47
	v_add_u32_e32 v43, 0xff000000, v43
	v_add_co_u32_e64 v46, s[22:23], s46, v46
	v_addc_co_u32_e64 v47, s[22:23], v51, v47, s[22:23]
	global_store_dword v[48:49], v43, off
	s_waitcnt vmcnt(1)
	global_store_dword v[46:47], v12, off
	v_mov_b32_e32 v12, 1
.LBB38_66:                              ;   in Loop: Header=BB38_46 Depth=1
	s_or_b64 exec, exec, s[24:25]
	v_add_u32_e32 v42, v12, v42
	s_and_saveexec_b64 s[22:23], s[20:21]
	s_cbranch_execz .LBB38_68
; %bb.67:                               ;   in Loop: Header=BB38_46 Depth=1
	v_and_b32_sdwa v43, s63, v3 dst_sel:DWORD dst_unused:UNUSED_PAD src0_sel:DWORD src1_sel:BYTE_3
	v_add3_u32 v12, v28, s61, v43
	v_lshlrev_b64 v[2:3], 2, v[12:13]
	v_mov_b32_e32 v12, s59
	v_add_co_u32_e64 v2, s[20:21], s58, v2
	v_addc_co_u32_e64 v3, s[20:21], v12, v3, s[20:21]
	global_load_dword v12, v[2:3], off
	v_add3_u32 v3, v8, s34, 7
	v_add_u32_e32 v2, v42, v6
	v_and_b32_e32 v46, 0xfffff7, v3
	v_ashrrev_i32_e32 v3, 31, v2
	v_lshlrev_b64 v[2:3], 2, v[2:3]
	v_mov_b32_e32 v47, s45
	v_lshl_or_b32 v43, v43, 24, v46
	v_add_co_u32_e64 v46, s[20:21], s44, v2
	v_addc_co_u32_e64 v47, s[20:21], v47, v3, s[20:21]
	v_mov_b32_e32 v48, s47
	v_add_u32_e32 v43, 0xff000000, v43
	v_add_co_u32_e64 v2, s[20:21], s46, v2
	v_addc_co_u32_e64 v3, s[20:21], v48, v3, s[20:21]
	global_store_dword v[46:47], v43, off
	s_waitcnt vmcnt(1)
	global_store_dword v[2:3], v12, off
	v_mov_b32_e32 v2, 1
.LBB38_68:                              ;   in Loop: Header=BB38_46 Depth=1
	s_or_b64 exec, exec, s[22:23]
	v_add_u32_e32 v3, v2, v42
	v_mov_b32_e32 v2, 0
	v_mov_b32_e32 v12, 0
	s_and_saveexec_b64 s[22:23], s[42:43]
	s_cbranch_execz .LBB38_70
; %bb.69:                               ;   in Loop: Header=BB38_46 Depth=1
	v_add3_u32 v12, v26, s61, v41
	v_lshlrev_b64 v[42:43], 2, v[12:13]
	v_mov_b32_e32 v12, s59
	v_add_co_u32_e64 v42, s[20:21], s58, v42
	v_addc_co_u32_e64 v43, s[20:21], v12, v43, s[20:21]
	global_load_dword v12, v[42:43], off
	v_add_u32_e32 v42, v3, v6
	v_ashrrev_i32_e32 v43, 31, v42
	v_add3_u32 v41, v8, s34, 8
	v_lshlrev_b64 v[42:43], 2, v[42:43]
	v_mov_b32_e32 v47, s45
	v_and_b32_e32 v41, 0xfffff8, v41
	v_add_co_u32_e64 v46, s[20:21], s44, v42
	v_lshl_or_b32 v4, v4, 24, v41
	v_addc_co_u32_e64 v47, s[20:21], v47, v43, s[20:21]
	v_mov_b32_e32 v48, s47
	v_add_u32_e32 v4, 0xff000000, v4
	v_add_co_u32_e64 v42, s[20:21], s46, v42
	v_addc_co_u32_e64 v43, s[20:21], v48, v43, s[20:21]
	global_store_dword v[46:47], v4, off
	s_waitcnt vmcnt(1)
	global_store_dword v[42:43], v12, off
	v_mov_b32_e32 v12, 1
.LBB38_70:                              ;   in Loop: Header=BB38_46 Depth=1
	s_or_b64 exec, exec, s[22:23]
	v_add_u32_e32 v3, v12, v3
	s_and_saveexec_b64 s[20:21], s[18:19]
	s_cbranch_execz .LBB38_72
; %bb.71:                               ;   in Loop: Header=BB38_46 Depth=1
	v_add3_u32 v12, v24, s61, v39
	v_lshlrev_b64 v[42:43], 2, v[12:13]
	v_mov_b32_e32 v2, s59
	v_add_co_u32_e64 v42, s[18:19], s58, v42
	v_addc_co_u32_e64 v43, s[18:19], v2, v43, s[18:19]
	global_load_dword v2, v[42:43], off
	v_add_u32_e32 v42, v3, v6
	v_ashrrev_i32_e32 v43, 31, v42
	v_add3_u32 v4, v8, s34, 9
	v_lshlrev_b64 v[42:43], 2, v[42:43]
	v_mov_b32_e32 v12, s45
	v_and_b32_e32 v4, 0xfffff9, v4
	v_add_co_u32_e64 v46, s[18:19], s44, v42
	v_lshl_or_b32 v4, v37, 24, v4
	v_addc_co_u32_e64 v47, s[18:19], v12, v43, s[18:19]
	v_mov_b32_e32 v39, s47
	v_add_u32_e32 v4, 0xff000000, v4
	v_add_co_u32_e64 v42, s[18:19], s46, v42
	v_addc_co_u32_e64 v43, s[18:19], v39, v43, s[18:19]
	global_store_dword v[46:47], v4, off
	s_waitcnt vmcnt(1)
	global_store_dword v[42:43], v2, off
	v_mov_b32_e32 v2, 1
.LBB38_72:                              ;   in Loop: Header=BB38_46 Depth=1
	s_or_b64 exec, exec, s[20:21]
	v_add_u32_e32 v3, v2, v3
	v_mov_b32_e32 v2, 0
	v_mov_b32_e32 v4, 0
	s_and_saveexec_b64 s[20:21], s[40:41]
	s_cbranch_execz .LBB38_74
; %bb.73:                               ;   in Loop: Header=BB38_46 Depth=1
	v_add3_u32 v12, v22, s61, v35
	v_lshlrev_b64 v[42:43], 2, v[12:13]
	v_mov_b32_e32 v4, s59
	v_add_co_u32_e64 v42, s[18:19], s58, v42
	v_addc_co_u32_e64 v43, s[18:19], v4, v43, s[18:19]
	global_load_dword v4, v[42:43], off
	v_add_u32_e32 v42, v3, v6
	v_ashrrev_i32_e32 v43, 31, v42
	v_add3_u32 v12, v8, s34, 10
	v_lshlrev_b64 v[42:43], 2, v[42:43]
	v_mov_b32_e32 v35, s45
	v_and_b32_e32 v12, 0xfffffa, v12
	v_add_co_u32_e64 v46, s[18:19], s44, v42
	v_lshl_or_b32 v12, v33, 24, v12
	v_addc_co_u32_e64 v47, s[18:19], v35, v43, s[18:19]
	v_mov_b32_e32 v37, s47
	v_add_u32_e32 v12, 0xff000000, v12
	v_add_co_u32_e64 v42, s[18:19], s46, v42
	v_addc_co_u32_e64 v43, s[18:19], v37, v43, s[18:19]
	global_store_dword v[46:47], v12, off
	s_waitcnt vmcnt(1)
	global_store_dword v[42:43], v4, off
	v_mov_b32_e32 v4, 1
.LBB38_74:                              ;   in Loop: Header=BB38_46 Depth=1
	s_or_b64 exec, exec, s[20:21]
	v_add_u32_e32 v3, v4, v3
	s_and_saveexec_b64 s[18:19], s[16:17]
	s_cbranch_execz .LBB38_76
; %bb.75:                               ;   in Loop: Header=BB38_46 Depth=1
	v_add3_u32 v12, v20, s61, v31
	v_lshlrev_b64 v[42:43], 2, v[12:13]
	v_mov_b32_e32 v2, s59
	v_add_co_u32_e64 v42, s[16:17], s58, v42
	v_addc_co_u32_e64 v43, s[16:17], v2, v43, s[16:17]
	global_load_dword v2, v[42:43], off
	v_add3_u32 v4, v8, s34, 11
	v_add_u32_e32 v42, v3, v6
	v_and_b32_e32 v4, 0xfffffb, v4
	v_ashrrev_i32_e32 v43, 31, v42
	v_lshl_or_b32 v4, v40, 24, v4
	v_lshlrev_b64 v[40:41], 2, v[42:43]
	v_mov_b32_e32 v12, s45
	v_add_co_u32_e64 v42, s[16:17], s44, v40
	v_addc_co_u32_e64 v43, s[16:17], v12, v41, s[16:17]
	v_mov_b32_e32 v31, s47
	v_add_u32_e32 v4, 0xff000000, v4
	v_add_co_u32_e64 v40, s[16:17], s46, v40
	v_addc_co_u32_e64 v41, s[16:17], v31, v41, s[16:17]
	global_store_dword v[42:43], v4, off
	s_waitcnt vmcnt(1)
	global_store_dword v[40:41], v2, off
	v_mov_b32_e32 v2, 1
.LBB38_76:                              ;   in Loop: Header=BB38_46 Depth=1
	s_or_b64 exec, exec, s[18:19]
	v_add_u32_e32 v3, v2, v3
	v_mov_b32_e32 v2, 0
	v_mov_b32_e32 v4, 0
	s_and_saveexec_b64 s[18:19], s[38:39]
	s_cbranch_execz .LBB38_78
; %bb.77:                               ;   in Loop: Header=BB38_46 Depth=1
	v_add3_u32 v12, v18, s61, v29
	v_lshlrev_b64 v[40:41], 2, v[12:13]
	v_mov_b32_e32 v4, s59
	v_add_co_u32_e64 v40, s[16:17], s58, v40
	v_addc_co_u32_e64 v41, s[16:17], v4, v41, s[16:17]
	global_load_dword v4, v[40:41], off
	v_add_u32_e32 v40, v3, v6
	v_ashrrev_i32_e32 v41, 31, v40
	v_add3_u32 v12, v8, s34, 12
	v_lshlrev_b64 v[40:41], 2, v[40:41]
	v_mov_b32_e32 v29, s45
	v_and_b32_e32 v12, 0xfffffc, v12
	v_add_co_u32_e64 v42, s[16:17], s44, v40
	v_lshl_or_b32 v12, v5, 24, v12
	v_addc_co_u32_e64 v43, s[16:17], v29, v41, s[16:17]
	v_mov_b32_e32 v31, s47
	v_add_u32_e32 v12, 0xff000000, v12
	v_add_co_u32_e64 v40, s[16:17], s46, v40
	v_addc_co_u32_e64 v41, s[16:17], v31, v41, s[16:17]
	global_store_dword v[42:43], v12, off
	s_waitcnt vmcnt(1)
	global_store_dword v[40:41], v4, off
	v_mov_b32_e32 v4, 1
.LBB38_78:                              ;   in Loop: Header=BB38_46 Depth=1
	s_or_b64 exec, exec, s[18:19]
	v_add_u32_e32 v3, v4, v3
	s_and_saveexec_b64 s[16:17], s[14:15]
	s_cbranch_execz .LBB38_80
; %bb.79:                               ;   in Loop: Header=BB38_46 Depth=1
	v_add3_u32 v12, v16, s61, v27
	v_lshlrev_b64 v[40:41], 2, v[12:13]
	v_mov_b32_e32 v2, s59
	v_add_co_u32_e64 v40, s[14:15], s58, v40
	v_addc_co_u32_e64 v41, s[14:15], v2, v41, s[14:15]
	global_load_dword v2, v[40:41], off
	v_add_u32_e32 v40, v3, v6
	v_ashrrev_i32_e32 v41, 31, v40
	v_add3_u32 v4, v8, s34, 13
	v_lshlrev_b64 v[40:41], 2, v[40:41]
	v_mov_b32_e32 v12, s45
	v_and_b32_e32 v4, 0xfffffd, v4
	v_add_co_u32_e64 v42, s[14:15], s44, v40
	v_lshl_or_b32 v4, v23, 24, v4
	v_addc_co_u32_e64 v43, s[14:15], v12, v41, s[14:15]
	v_mov_b32_e32 v27, s47
	v_add_u32_e32 v4, 0xff000000, v4
	v_add_co_u32_e64 v40, s[14:15], s46, v40
	v_addc_co_u32_e64 v41, s[14:15], v27, v41, s[14:15]
	global_store_dword v[42:43], v4, off
	s_waitcnt vmcnt(1)
	global_store_dword v[40:41], v2, off
	v_mov_b32_e32 v2, 1
.LBB38_80:                              ;   in Loop: Header=BB38_46 Depth=1
	s_or_b64 exec, exec, s[16:17]
	v_add_u32_e32 v2, v2, v3
	v_mov_b32_e32 v3, 0
	s_and_saveexec_b64 s[16:17], s[36:37]
	s_cbranch_execz .LBB38_82
; %bb.81:                               ;   in Loop: Header=BB38_46 Depth=1
	v_add3_u32 v12, v14, s61, v25
	v_lshlrev_b64 v[40:41], 2, v[12:13]
	v_mov_b32_e32 v3, s59
	v_add_co_u32_e64 v40, s[14:15], s58, v40
	v_addc_co_u32_e64 v41, s[14:15], v3, v41, s[14:15]
	global_load_dword v3, v[40:41], off
	v_add_u32_e32 v40, v2, v6
	v_ashrrev_i32_e32 v41, 31, v40
	v_add3_u32 v4, v8, s34, 14
	v_lshlrev_b64 v[40:41], 2, v[40:41]
	v_mov_b32_e32 v12, s45
	v_and_b32_e32 v4, 0xfffffe, v4
	v_add_co_u32_e64 v42, s[14:15], s44, v40
	v_lshl_or_b32 v4, v21, 24, v4
	v_addc_co_u32_e64 v43, s[14:15], v12, v41, s[14:15]
	v_mov_b32_e32 v23, s47
	v_add_u32_e32 v4, 0xff000000, v4
	v_add_co_u32_e64 v40, s[14:15], s46, v40
	v_addc_co_u32_e64 v41, s[14:15], v23, v41, s[14:15]
	global_store_dword v[42:43], v4, off
	s_waitcnt vmcnt(1)
	global_store_dword v[40:41], v3, off
	v_mov_b32_e32 v3, 1
.LBB38_82:                              ;   in Loop: Header=BB38_46 Depth=1
	s_or_b64 exec, exec, s[16:17]
	s_and_saveexec_b64 s[14:15], s[12:13]
	s_cbranch_execz .LBB38_45
; %bb.83:                               ;   in Loop: Header=BB38_46 Depth=1
	v_and_b32_sdwa v21, s63, v5 dst_sel:DWORD dst_unused:UNUSED_PAD src0_sel:DWORD src1_sel:BYTE_3
	v_add3_u32 v12, v10, s61, v21
	v_lshlrev_b64 v[4:5], 2, v[12:13]
	v_mov_b32_e32 v12, s59
	v_add_co_u32_e64 v4, s[12:13], s58, v4
	v_addc_co_u32_e64 v5, s[12:13], v12, v5, s[12:13]
	global_load_dword v12, v[4:5], off
	v_add3_u32 v2, v2, v6, v3
	v_ashrrev_i32_e32 v3, 31, v2
	v_add_u32_e32 v4, -1, v21
	v_add3_u32 v5, v8, s34, 15
	v_lshlrev_b64 v[2:3], 2, v[2:3]
	v_perm_b32 v21, v4, v5, s64
	v_mov_b32_e32 v5, s45
	v_add_co_u32_e64 v4, s[12:13], s44, v2
	v_addc_co_u32_e64 v5, s[12:13], v5, v3, s[12:13]
	global_store_dword v[4:5], v21, off
	v_mov_b32_e32 v4, s47
	v_add_co_u32_e64 v2, s[12:13], s46, v2
	v_addc_co_u32_e64 v3, s[12:13], v4, v3, s[12:13]
	s_waitcnt vmcnt(1)
	global_store_dword v[2:3], v12, off
	s_branch .LBB38_45
.LBB38_84:
	s_waitcnt lgkmcnt(0)
	v_add_u32_e32 v1, v19, v6
	v_add_u32_e32 v2, v1, v0
	v_cmp_lt_i32_e32 vcc, v2, v7
	s_and_saveexec_b64 s[0:1], vcc
	s_cbranch_execz .LBB38_92
; %bb.85:
	v_add_u32_e32 v3, 0x100, v2
	v_max_i32_e32 v4, v7, v3
	s_and_b32 s0, s52, 0xffffff
	s_lshl_b32 s1, s30, 24
	v_xad_u32 v0, v0, -1, v4
	s_or_b32 s6, s1, s0
	v_sub_u32_e32 v0, v0, v1
	s_movk_i32 s0, 0xff
	v_cmp_lt_u32_e32 vcc, s0, v0
	s_mov_b64 s[0:1], -1
	s_and_saveexec_b64 s[2:3], vcc
	s_cbranch_execz .LBB38_89
; %bb.86:
	v_lshrrev_b32_e32 v0, 8, v0
	v_add_u32_e32 v4, 1, v0
	v_and_b32_e32 v5, 0x1fffffe, v4
	s_mov_b64 s[4:5], 0
	v_mov_b32_e32 v6, s45
	v_mov_b32_e32 v8, s6
	;; [unrolled: 1-line block ×5, first 2 shown]
	v_pk_mov_b32 v[0:1], v[2:3], v[2:3] op_sel:[0,1]
.LBB38_87:                              ; =>This Inner Loop Header: Depth=1
	v_ashrrev_i32_e32 v15, 31, v0
	v_mov_b32_e32 v14, v0
	v_lshlrev_b64 v[14:15], 2, v[14:15]
	v_ashrrev_i32_e32 v13, 31, v1
	v_mov_b32_e32 v12, v1
	v_add_co_u32_e64 v16, s[0:1], s44, v14
	v_lshlrev_b64 v[12:13], 2, v[12:13]
	v_addc_co_u32_e64 v17, s[0:1], v6, v15, s[0:1]
	v_add_co_u32_e64 v18, s[0:1], s44, v12
	v_addc_co_u32_e64 v19, s[0:1], v6, v13, s[0:1]
	v_add_u32_e32 v11, -2, v11
	v_add_co_u32_e64 v14, s[0:1], s46, v14
	v_cmp_eq_u32_e32 vcc, 0, v11
	v_addc_co_u32_e64 v15, s[0:1], v9, v15, s[0:1]
	v_add_u32_e32 v1, 0x200, v1
	v_add_u32_e32 v0, 0x200, v0
	v_add_co_u32_e64 v12, s[0:1], s46, v12
	s_or_b64 s[4:5], vcc, s[4:5]
	v_addc_co_u32_e64 v13, s[0:1], v9, v13, s[0:1]
	global_store_dword v[16:17], v8, off
	global_store_dword v[18:19], v8, off
	;; [unrolled: 1-line block ×4, first 2 shown]
	s_andn2_b64 exec, exec, s[4:5]
	s_cbranch_execnz .LBB38_87
; %bb.88:
	s_or_b64 exec, exec, s[4:5]
	v_cmp_ne_u32_e32 vcc, v4, v5
	v_lshl_add_u32 v2, v5, 8, v2
	s_orn2_b64 s[0:1], vcc, exec
.LBB38_89:
	s_or_b64 exec, exec, s[2:3]
	s_and_b64 exec, exec, s[0:1]
	s_cbranch_execz .LBB38_92
; %bb.90:
	v_ashrrev_i32_e32 v3, 31, v2
	v_lshlrev_b64 v[4:5], 2, v[2:3]
	v_mov_b32_e32 v1, s45
	v_add_co_u32_e32 v0, vcc, s44, v4
	v_addc_co_u32_e32 v1, vcc, v1, v5, vcc
	v_mov_b32_e32 v3, s47
	v_add_co_u32_e32 v4, vcc, s46, v4
	v_addc_co_u32_e32 v5, vcc, v3, v5, vcc
	s_mov_b64 s[2:3], 0
	v_mov_b32_e32 v3, s6
	v_mov_b32_e32 v6, 0
.LBB38_91:                              ; =>This Inner Loop Header: Depth=1
	global_store_dword v[0:1], v3, off
	global_store_dword v[4:5], v6, off
	v_add_co_u32_e32 v0, vcc, 0x400, v0
	v_add_u32_e32 v2, 0x100, v2
	v_addc_co_u32_e32 v1, vcc, 0, v1, vcc
	v_add_co_u32_e32 v4, vcc, 0x400, v4
	v_cmp_ge_i32_e64 s[0:1], v2, v7
	s_or_b64 s[2:3], s[0:1], s[2:3]
	v_addc_co_u32_e32 v5, vcc, 0, v5, vcc
	s_andn2_b64 exec, exec, s[2:3]
	s_cbranch_execnz .LBB38_91
.LBB38_92:
	s_endpgm
	.section	.rodata,"a",@progbits
	.p2align	6, 0x0
	.amdhsa_kernel _ZN5aiter22opus_moe_sorting_entryINS_30MoeSortingMultiPhaseKernel_P23INS_19MoeSortingProblemMpIifhLi16ELb1ELb0ELb1EEEEENS4_5KargsEEEvT0_
		.amdhsa_group_segment_fixed_size 0
		.amdhsa_private_segment_fixed_size 0
		.amdhsa_kernarg_size 400
		.amdhsa_user_sgpr_count 6
		.amdhsa_user_sgpr_private_segment_buffer 1
		.amdhsa_user_sgpr_dispatch_ptr 0
		.amdhsa_user_sgpr_queue_ptr 0
		.amdhsa_user_sgpr_kernarg_segment_ptr 1
		.amdhsa_user_sgpr_dispatch_id 0
		.amdhsa_user_sgpr_flat_scratch_init 0
		.amdhsa_user_sgpr_kernarg_preload_length 0
		.amdhsa_user_sgpr_kernarg_preload_offset 0
		.amdhsa_user_sgpr_private_segment_size 0
		.amdhsa_uses_dynamic_stack 0
		.amdhsa_system_sgpr_private_segment_wavefront_offset 0
		.amdhsa_system_sgpr_workgroup_id_x 1
		.amdhsa_system_sgpr_workgroup_id_y 0
		.amdhsa_system_sgpr_workgroup_id_z 0
		.amdhsa_system_sgpr_workgroup_info 0
		.amdhsa_system_vgpr_workitem_id 0
		.amdhsa_next_free_vgpr 63
		.amdhsa_next_free_sgpr 65
		.amdhsa_accum_offset 64
		.amdhsa_reserve_vcc 1
		.amdhsa_reserve_flat_scratch 0
		.amdhsa_float_round_mode_32 0
		.amdhsa_float_round_mode_16_64 0
		.amdhsa_float_denorm_mode_32 3
		.amdhsa_float_denorm_mode_16_64 3
		.amdhsa_dx10_clamp 1
		.amdhsa_ieee_mode 1
		.amdhsa_fp16_overflow 0
		.amdhsa_tg_split 0
		.amdhsa_exception_fp_ieee_invalid_op 0
		.amdhsa_exception_fp_denorm_src 0
		.amdhsa_exception_fp_ieee_div_zero 0
		.amdhsa_exception_fp_ieee_overflow 0
		.amdhsa_exception_fp_ieee_underflow 0
		.amdhsa_exception_fp_ieee_inexact 0
		.amdhsa_exception_int_div_zero 0
	.end_amdhsa_kernel
	.section	.text._ZN5aiter22opus_moe_sorting_entryINS_30MoeSortingMultiPhaseKernel_P23INS_19MoeSortingProblemMpIifhLi16ELb1ELb0ELb1EEEEENS4_5KargsEEEvT0_,"axG",@progbits,_ZN5aiter22opus_moe_sorting_entryINS_30MoeSortingMultiPhaseKernel_P23INS_19MoeSortingProblemMpIifhLi16ELb1ELb0ELb1EEEEENS4_5KargsEEEvT0_,comdat
.Lfunc_end38:
	.size	_ZN5aiter22opus_moe_sorting_entryINS_30MoeSortingMultiPhaseKernel_P23INS_19MoeSortingProblemMpIifhLi16ELb1ELb0ELb1EEEEENS4_5KargsEEEvT0_, .Lfunc_end38-_ZN5aiter22opus_moe_sorting_entryINS_30MoeSortingMultiPhaseKernel_P23INS_19MoeSortingProblemMpIifhLi16ELb1ELb0ELb1EEEEENS4_5KargsEEEvT0_
                                        ; -- End function
	.section	.AMDGPU.csdata,"",@progbits
; Kernel info:
; codeLenInByte = 6248
; NumSgprs: 69
; NumVgprs: 63
; NumAgprs: 0
; TotalNumVgprs: 63
; ScratchSize: 0
; MemoryBound: 0
; FloatMode: 240
; IeeeMode: 1
; LDSByteSize: 0 bytes/workgroup (compile time only)
; SGPRBlocks: 8
; VGPRBlocks: 7
; NumSGPRsForWavesPerEU: 69
; NumVGPRsForWavesPerEU: 63
; AccumOffset: 64
; Occupancy: 8
; WaveLimiterHint : 0
; COMPUTE_PGM_RSRC2:SCRATCH_EN: 0
; COMPUTE_PGM_RSRC2:USER_SGPR: 6
; COMPUTE_PGM_RSRC2:TRAP_HANDLER: 0
; COMPUTE_PGM_RSRC2:TGID_X_EN: 1
; COMPUTE_PGM_RSRC2:TGID_Y_EN: 0
; COMPUTE_PGM_RSRC2:TGID_Z_EN: 0
; COMPUTE_PGM_RSRC2:TIDIG_COMP_CNT: 0
; COMPUTE_PGM_RSRC3_GFX90A:ACCUM_OFFSET: 15
; COMPUTE_PGM_RSRC3_GFX90A:TG_SPLIT: 0
	.section	.text._ZN5aiter22opus_moe_sorting_entryINS_32MoeSortingMultiPhaseKernel_P0_v2INS_19MoeSortingProblemMpIifhLi4ELb0ELb1ELb1EEEEENS4_5KargsEEEvT0_,"axG",@progbits,_ZN5aiter22opus_moe_sorting_entryINS_32MoeSortingMultiPhaseKernel_P0_v2INS_19MoeSortingProblemMpIifhLi4ELb0ELb1ELb1EEEEENS4_5KargsEEEvT0_,comdat
	.protected	_ZN5aiter22opus_moe_sorting_entryINS_32MoeSortingMultiPhaseKernel_P0_v2INS_19MoeSortingProblemMpIifhLi4ELb0ELb1ELb1EEEEENS4_5KargsEEEvT0_ ; -- Begin function _ZN5aiter22opus_moe_sorting_entryINS_32MoeSortingMultiPhaseKernel_P0_v2INS_19MoeSortingProblemMpIifhLi4ELb0ELb1ELb1EEEEENS4_5KargsEEEvT0_
	.globl	_ZN5aiter22opus_moe_sorting_entryINS_32MoeSortingMultiPhaseKernel_P0_v2INS_19MoeSortingProblemMpIifhLi4ELb0ELb1ELb1EEEEENS4_5KargsEEEvT0_
	.p2align	8
	.type	_ZN5aiter22opus_moe_sorting_entryINS_32MoeSortingMultiPhaseKernel_P0_v2INS_19MoeSortingProblemMpIifhLi4ELb0ELb1ELb1EEEEENS4_5KargsEEEvT0_,@function
_ZN5aiter22opus_moe_sorting_entryINS_32MoeSortingMultiPhaseKernel_P0_v2INS_19MoeSortingProblemMpIifhLi4ELb0ELb1ELb1EEEEENS4_5KargsEEEvT0_: ; @_ZN5aiter22opus_moe_sorting_entryINS_32MoeSortingMultiPhaseKernel_P0_v2INS_19MoeSortingProblemMpIifhLi4ELb0ELb1ELb1EEEEENS4_5KargsEEEvT0_
; %bb.0:
	s_load_dwordx4 s[12:15], s[4:5], 0x0
	s_load_dwordx2 s[2:3], s[4:5], 0x10
	s_waitcnt lgkmcnt(0)
	s_load_dword s26, s[14:15], 0x0
	s_load_dwordx4 s[8:11], s[4:5], 0x20
	s_waitcnt lgkmcnt(0)
	s_add_i32 s27, s26, 31
	s_ashr_i32 s0, s27, 31
	s_lshr_b32 s0, s0, 27
	s_add_i32 s27, s27, s0
	s_and_b32 s20, s27, 0xffffffe0
	s_mul_i32 s7, s20, s6
	s_ashr_i32 s11, s7, 31
	s_add_u32 s14, s2, s7
	s_addc_u32 s15, s3, s11
	v_cmp_gt_i32_e32 vcc, s20, v0
	s_and_saveexec_b64 s[16:17], vcc
	s_cbranch_execz .LBB39_8
; %bb.1:
	v_xad_u32 v1, v0, -1, s20
	s_movk_i32 s0, 0xdff
	v_cmp_lt_u32_e32 vcc, s0, v1
	s_mov_b64 s[18:19], -1
	v_mov_b32_e32 v2, v0
	s_and_saveexec_b64 s[0:1], vcc
	s_cbranch_execz .LBB39_5
; %bb.2:
	v_lshrrev_b32_e32 v1, 9, v1
	v_add_u32_e32 v10, 1, v1
	v_add_u32_e32 v7, 0xe00, v0
	v_or_b32_e32 v6, 0xc00, v0
	v_add_u32_e32 v5, 0xa00, v0
	v_or_b32_e32 v4, 0x800, v0
	;; [unrolled: 2-line block ×3, first 2 shown]
	v_and_b32_e32 v11, 0xfffff8, v10
	v_add_u32_e32 v1, 0x200, v0
	v_pk_mov_b32 v[8:9], v[6:7], v[6:7] op_sel:[0,1]
	s_mov_b64 s[18:19], 0
	v_mov_b32_e32 v12, s15
	v_mov_b32_e32 v13, 0
	;; [unrolled: 1-line block ×3, first 2 shown]
	v_pk_mov_b32 v[6:7], v[4:5], v[4:5] op_sel:[0,1]
	v_pk_mov_b32 v[4:5], v[2:3], v[2:3] op_sel:[0,1]
	;; [unrolled: 1-line block ×3, first 2 shown]
.LBB39_3:                               ; =>This Inner Loop Header: Depth=1
	v_add_co_u32_e32 v16, vcc, s14, v2
	v_addc_co_u32_e32 v17, vcc, 0, v12, vcc
	v_add_co_u32_e32 v18, vcc, s14, v3
	v_addc_co_u32_e32 v19, vcc, 0, v12, vcc
	;; [unrolled: 2-line block ×8, first 2 shown]
	v_add_u32_e32 v14, -8, v14
	v_cmp_eq_u32_e32 vcc, 0, v14
	v_add_u32_e32 v9, 0x1000, v9
	v_add_u32_e32 v8, 0x1000, v8
	;; [unrolled: 1-line block ×8, first 2 shown]
	s_or_b64 s[18:19], vcc, s[18:19]
	global_store_byte v[16:17], v13, off
	global_store_byte v[18:19], v13, off
	;; [unrolled: 1-line block ×8, first 2 shown]
	s_andn2_b64 exec, exec, s[18:19]
	s_cbranch_execnz .LBB39_3
; %bb.4:
	s_or_b64 exec, exec, s[18:19]
	v_cmp_ne_u32_e32 vcc, v10, v11
	v_lshl_or_b32 v2, v11, 9, v0
	s_orn2_b64 s[18:19], vcc, exec
.LBB39_5:
	s_or_b64 exec, exec, s[0:1]
	s_and_b64 exec, exec, s[18:19]
	s_cbranch_execz .LBB39_8
; %bb.6:
	v_mov_b32_e32 v3, 0
	s_mov_b64 s[18:19], 0
	v_mov_b32_e32 v1, s15
	v_pk_mov_b32 v[4:5], v[2:3], v[2:3] op_sel:[0,1]
.LBB39_7:                               ; =>This Inner Loop Header: Depth=1
	v_add_co_u32_e32 v6, vcc, s14, v4
	v_addc_co_u32_e32 v7, vcc, v1, v5, vcc
	v_add_co_u32_e32 v4, vcc, 0x200, v4
	v_cmp_le_i32_e64 s[0:1], s20, v4
	s_or_b64 s[18:19], s[0:1], s[18:19]
	v_addc_co_u32_e32 v5, vcc, 0, v5, vcc
	global_store_byte v[6:7], v3, off
	s_andn2_b64 exec, exec, s[18:19]
	s_cbranch_execnz .LBB39_7
.LBB39_8:
	s_or_b64 exec, exec, s[16:17]
	s_add_i32 s0, s26, 3
	s_ashr_i32 s1, s0, 31
	s_lshr_b32 s1, s1, 30
	s_load_dwordx2 s[4:5], s[4:5], 0x38
	s_add_i32 s0, s0, s1
	s_lshr_b32 s0, s0, 2
	s_mul_i32 s28, s8, s0
	s_andn2_b32 s28, s28, -2.0
	v_cmp_gt_u32_e32 vcc, s28, v0
	s_waitcnt lgkmcnt(0)
	s_barrier
	s_and_saveexec_b64 s[16:17], vcc
	s_cbranch_execz .LBB39_56
; %bb.9:
	v_xad_u32 v1, v0, -1, s28
	v_lshrrev_b32_e32 v2, 9, v1
	v_add_u32_e32 v2, 1, v2
	v_and_b32_e32 v2, 3, v2
	s_mov_b32 s19, 0
	s_mov_b32 s18, s9
	v_cmp_ne_u32_e32 vcc, 0, v2
	v_mov_b32_e32 v6, v0
	s_and_saveexec_b64 s[20:21], vcc
	s_cbranch_execz .LBB39_21
; %bb.10:
	v_lshlrev_b32_e32 v7, 2, v0
	v_or_b32_e32 v3, 3, v7
	v_mad_u64_u32 v[8:9], s[0:1], v3, s18, 0
	v_or_b32_e32 v3, 2, v7
	v_pk_mov_b32 v[4:5], s[18:19], s[18:19] op_sel:[0,1]
	v_mad_u64_u32 v[10:11], s[0:1], v3, s18, 0
	v_mad_u64_u32 v[12:13], s[0:1], s18, v7, v[4:5]
	;; [unrolled: 1-line block ×3, first 2 shown]
	v_lshlrev_b32_e32 v3, 4, v0
	s_lshl_b64 s[22:23], s[18:19], 11
	v_lshlrev_b64 v[14:15], 2, v[4:5]
	v_mov_b32_e32 v4, s13
	v_add_co_u32_e32 v16, vcc, s12, v3
	s_sub_i32 s9, 0, s8
	v_addc_co_u32_e32 v17, vcc, 0, v4, vcc
	v_lshlrev_b32_e32 v18, 11, v2
	s_mov_b64 s[24:25], 0
	v_mov_b32_e32 v19, s23
	v_mov_b32_e32 v6, v0
	s_branch .LBB39_12
.LBB39_11:                              ;   in Loop: Header=BB39_12 Depth=1
	s_or_b64 exec, exec, s[0:1]
	v_add_co_u32_e32 v8, vcc, s22, v8
	v_addc_co_u32_e32 v9, vcc, v9, v19, vcc
	v_add_co_u32_e32 v10, vcc, s22, v10
	v_addc_co_u32_e32 v11, vcc, v11, v19, vcc
	;; [unrolled: 2-line block ×3, first 2 shown]
	v_add_co_u32_e32 v14, vcc, s22, v14
	s_addk_i32 s19, 0x800
	v_addc_co_u32_e32 v15, vcc, v15, v19, vcc
	v_add_co_u32_e32 v16, vcc, 0x2000, v16
	v_cmp_eq_u32_e64 s[0:1], s19, v18
	v_add_u32_e32 v6, 0x200, v6
	s_or_b64 s[24:25], s[0:1], s[24:25]
	v_addc_co_u32_e32 v17, vcc, 0, v17, vcc
	s_andn2_b64 exec, exec, s[24:25]
	s_cbranch_execz .LBB39_20
.LBB39_12:                              ; =>This Inner Loop Header: Depth=1
	global_load_dwordx4 v[2:5], v[16:17], off
	v_add3_u32 v20, v7, v15, s19
	v_lshrrev_b32_e32 v20, s10, v20
	v_cmp_gt_i32_e64 s[0:1], s26, v20
	s_waitcnt vmcnt(0)
	v_cmp_eq_u32_e32 vcc, s6, v2
	s_and_b64 s[30:31], vcc, s[0:1]
	s_and_saveexec_b64 s[0:1], s[30:31]
	s_cbranch_execz .LBB39_14
; %bb.13:                               ;   in Loop: Header=BB39_12 Depth=1
	v_mul_lo_u32 v2, s9, v20
	v_add3_u32 v2, v7, s19, v2
	v_add_u16_e32 v2, 1, v2
	global_store_byte v20, v2, s[14:15]
.LBB39_14:                              ;   in Loop: Header=BB39_12 Depth=1
	s_or_b64 exec, exec, s[0:1]
	v_add_u32_e32 v2, s19, v7
	v_cmp_eq_u32_e32 vcc, s6, v3
	v_add3_u32 v3, v13, v2, 1
	v_lshrrev_b32_e32 v3, s10, v3
	v_cmp_gt_i32_e64 s[0:1], s26, v3
	s_and_b64 s[30:31], vcc, s[0:1]
	s_and_saveexec_b64 s[0:1], s[30:31]
	s_cbranch_execz .LBB39_16
; %bb.15:                               ;   in Loop: Header=BB39_12 Depth=1
	v_mad_u64_u32 v[20:21], s[30:31], s9, v3, v[2:3]
	v_add_u16_e32 v20, 2, v20
	global_store_byte v3, v20, s[14:15]
.LBB39_16:                              ;   in Loop: Header=BB39_12 Depth=1
	s_or_b64 exec, exec, s[0:1]
	v_add3_u32 v3, v11, v2, 2
	v_lshrrev_b32_e32 v3, s10, v3
	v_cmp_eq_u32_e32 vcc, s6, v4
	v_cmp_gt_i32_e64 s[0:1], s26, v3
	s_and_b64 s[30:31], vcc, s[0:1]
	s_and_saveexec_b64 s[0:1], s[30:31]
	s_cbranch_execz .LBB39_18
; %bb.17:                               ;   in Loop: Header=BB39_12 Depth=1
	v_mad_u64_u32 v[20:21], s[30:31], s9, v3, v[2:3]
	v_add_u16_e32 v4, 3, v20
	global_store_byte v3, v4, s[14:15]
.LBB39_18:                              ;   in Loop: Header=BB39_12 Depth=1
	s_or_b64 exec, exec, s[0:1]
	v_add3_u32 v3, v9, v2, 3
	v_lshrrev_b32_e32 v3, s10, v3
	v_cmp_eq_u32_e32 vcc, s6, v5
	v_cmp_gt_i32_e64 s[0:1], s26, v3
	s_and_b64 s[30:31], vcc, s[0:1]
	s_and_saveexec_b64 s[0:1], s[30:31]
	s_cbranch_execz .LBB39_11
; %bb.19:                               ;   in Loop: Header=BB39_12 Depth=1
	v_mad_u64_u32 v[4:5], s[30:31], s9, v3, v[2:3]
	v_add_u16_e32 v2, 4, v4
	global_store_byte v3, v2, s[14:15]
	s_branch .LBB39_11
.LBB39_20:
	s_or_b64 exec, exec, s[24:25]
.LBB39_21:
	s_or_b64 exec, exec, s[20:21]
	s_movk_i32 s0, 0x5ff
	v_cmp_lt_u32_e32 vcc, s0, v1
	s_and_b64 exec, exec, vcc
	s_cbranch_execz .LBB39_56
; %bb.22:
	v_mov_b32_e32 v7, 0
	v_lshlrev_b64 v[2:3], 4, v[6:7]
	v_lshlrev_b32_e32 v1, 2, v6
	v_mov_b32_e32 v4, s13
	v_add_co_u32_e32 v10, vcc, s12, v2
	s_sub_i32 s19, 0, s8
	v_add_u32_e32 v8, 0x1803, v1
	v_add_u32_e32 v9, 0x1802, v1
	;; [unrolled: 1-line block ×4, first 2 shown]
	v_addc_co_u32_e32 v11, vcc, v4, v3, vcc
	v_add_u32_e32 v7, 0x1003, v1
	v_add_u32_e32 v14, 0x1002, v1
	;; [unrolled: 1-line block ×4, first 2 shown]
	v_or_b32_e32 v17, 1, v1
	v_or_b32_e32 v18, 2, v1
	;; [unrolled: 1-line block ×3, first 2 shown]
	v_add_u32_e32 v20, 0x803, v1
	v_add_u32_e32 v21, 0x802, v1
	;; [unrolled: 1-line block ×4, first 2 shown]
	s_mov_b64 s[8:9], 0
	s_movk_i32 s12, 0xe7fd
	s_movk_i32 s13, 0xe7fe
	;; [unrolled: 1-line block ×12, first 2 shown]
	s_branch .LBB39_24
.LBB39_23:                              ;   in Loop: Header=BB39_24 Depth=1
	s_or_b64 exec, exec, s[0:1]
	v_add_co_u32_e32 v10, vcc, 0x8000, v10
	v_add_u32_e32 v6, 0x800, v6
	v_addc_co_u32_e32 v11, vcc, 0, v11, vcc
	v_cmp_le_u32_e32 vcc, s28, v6
	v_add_u32_e32 v8, 0x2000, v8
	v_add_u32_e32 v9, 0x2000, v9
	v_add_u32_e32 v12, 0x2000, v12
	v_add_u32_e32 v13, 0x2000, v13
	v_add_u32_e32 v7, 0x2000, v7
	v_add_u32_e32 v14, 0x2000, v14
	v_add_u32_e32 v15, 0x2000, v15
	v_add_u32_e32 v16, 0x2000, v16
	v_add_u32_e32 v1, 0x2000, v1
	v_add_u32_e32 v17, 0x2000, v17
	v_add_u32_e32 v18, 0x2000, v18
	v_add_u32_e32 v19, 0x2000, v19
	v_add_u32_e32 v20, 0x2000, v20
	v_add_u32_e32 v21, 0x2000, v21
	v_add_u32_e32 v22, 0x2000, v22
	s_or_b64 s[8:9], vcc, s[8:9]
	v_add_u32_e32 v23, 0x2000, v23
	s_andn2_b64 exec, exec, s[8:9]
	s_cbranch_execz .LBB39_56
.LBB39_24:                              ; =>This Inner Loop Header: Depth=1
	global_load_dwordx4 v[2:5], v[10:11], off
	v_mul_hi_u32 v24, s18, v1
	v_add3_u32 v24, v8, v24, s12
	v_lshrrev_b32_e32 v24, s10, v24
	v_cmp_gt_i32_e64 s[0:1], s26, v24
	s_waitcnt vmcnt(0)
	v_cmp_eq_u32_e32 vcc, s6, v2
	s_and_b64 s[34:35], vcc, s[0:1]
	s_and_saveexec_b64 s[0:1], s[34:35]
	s_cbranch_execz .LBB39_26
; %bb.25:                               ;   in Loop: Header=BB39_24 Depth=1
	v_mad_u64_u32 v[26:27], s[34:35], s19, v24, v[8:9]
	v_add_u16_e32 v2, -2, v26
	global_store_byte v24, v2, s[14:15]
.LBB39_26:                              ;   in Loop: Header=BB39_24 Depth=1
	s_or_b64 exec, exec, s[0:1]
	v_mul_hi_u32 v2, s18, v17
	v_add3_u32 v2, v8, v2, s13
	v_lshrrev_b32_e32 v2, s10, v2
	v_cmp_eq_u32_e32 vcc, s6, v3
	v_cmp_gt_i32_e64 s[0:1], s26, v2
	s_and_b64 s[34:35], vcc, s[0:1]
	s_and_saveexec_b64 s[0:1], s[34:35]
	s_cbranch_execz .LBB39_28
; %bb.27:                               ;   in Loop: Header=BB39_24 Depth=1
	v_mad_u64_u32 v[24:25], s[34:35], s19, v2, v[8:9]
	v_add_u16_e32 v3, -1, v24
	global_store_byte v2, v3, s[14:15]
.LBB39_28:                              ;   in Loop: Header=BB39_24 Depth=1
	s_or_b64 exec, exec, s[0:1]
	v_mul_hi_u32 v2, s18, v18
	v_add3_u32 v2, v8, v2, s20
	v_lshrrev_b32_e32 v2, s10, v2
	v_cmp_eq_u32_e32 vcc, s6, v4
	v_cmp_gt_i32_e64 s[0:1], s26, v2
	s_and_b64 s[34:35], vcc, s[0:1]
	s_and_saveexec_b64 s[0:1], s[34:35]
	s_cbranch_execz .LBB39_30
; %bb.29:                               ;   in Loop: Header=BB39_24 Depth=1
	v_mad_u64_u32 v[24:25], s[34:35], s19, v2, v[8:9]
	global_store_byte v2, v24, s[14:15]
.LBB39_30:                              ;   in Loop: Header=BB39_24 Depth=1
	s_or_b64 exec, exec, s[0:1]
	v_mul_hi_u32 v2, s18, v19
	v_add3_u32 v2, v8, v2, s21
	v_lshrrev_b32_e32 v2, s10, v2
	v_cmp_eq_u32_e32 vcc, s6, v5
	v_cmp_gt_i32_e64 s[0:1], s26, v2
	s_and_b64 s[34:35], vcc, s[0:1]
	s_and_saveexec_b64 s[0:1], s[34:35]
	s_cbranch_execz .LBB39_32
; %bb.31:                               ;   in Loop: Header=BB39_24 Depth=1
	v_mad_u64_u32 v[4:5], s[34:35], s19, v2, v[8:9]
	v_add_u16_e32 v3, 1, v4
	global_store_byte v2, v3, s[14:15]
.LBB39_32:                              ;   in Loop: Header=BB39_24 Depth=1
	s_or_b64 exec, exec, s[0:1]
	v_add_co_u32_e32 v2, vcc, 0x2000, v10
	v_addc_co_u32_e32 v3, vcc, 0, v11, vcc
	global_load_dwordx4 v[2:5], v[2:3], off
	v_mul_hi_u32 v24, s18, v23
	v_add3_u32 v24, v8, v24, s22
	v_lshrrev_b32_e32 v24, s10, v24
	v_cmp_gt_i32_e64 s[0:1], s26, v24
	s_waitcnt vmcnt(0)
	v_cmp_eq_u32_e32 vcc, s6, v2
	s_and_b64 s[34:35], vcc, s[0:1]
	s_and_saveexec_b64 s[0:1], s[34:35]
	s_cbranch_execz .LBB39_34
; %bb.33:                               ;   in Loop: Header=BB39_24 Depth=1
	v_mad_u64_u32 v[26:27], s[34:35], s19, v24, v[8:9]
	v_add_u16_e32 v2, -2, v26
	global_store_byte v24, v2, s[14:15]
.LBB39_34:                              ;   in Loop: Header=BB39_24 Depth=1
	s_or_b64 exec, exec, s[0:1]
	v_mul_hi_u32 v2, s18, v22
	v_add3_u32 v2, v8, v2, s23
	v_lshrrev_b32_e32 v2, s10, v2
	v_cmp_eq_u32_e32 vcc, s6, v3
	v_cmp_gt_i32_e64 s[0:1], s26, v2
	s_and_b64 s[34:35], vcc, s[0:1]
	s_and_saveexec_b64 s[0:1], s[34:35]
	s_cbranch_execz .LBB39_36
; %bb.35:                               ;   in Loop: Header=BB39_24 Depth=1
	v_mad_u64_u32 v[24:25], s[34:35], s19, v2, v[8:9]
	v_add_u16_e32 v3, -1, v24
	global_store_byte v2, v3, s[14:15]
.LBB39_36:                              ;   in Loop: Header=BB39_24 Depth=1
	s_or_b64 exec, exec, s[0:1]
	v_mul_hi_u32 v2, s18, v21
	v_add3_u32 v2, v8, v2, s24
	v_lshrrev_b32_e32 v2, s10, v2
	v_cmp_eq_u32_e32 vcc, s6, v4
	v_cmp_gt_i32_e64 s[0:1], s26, v2
	s_and_b64 s[34:35], vcc, s[0:1]
	s_and_saveexec_b64 s[0:1], s[34:35]
	s_cbranch_execz .LBB39_38
; %bb.37:                               ;   in Loop: Header=BB39_24 Depth=1
	v_mad_u64_u32 v[24:25], s[34:35], s19, v2, v[8:9]
	global_store_byte v2, v24, s[14:15]
.LBB39_38:                              ;   in Loop: Header=BB39_24 Depth=1
	s_or_b64 exec, exec, s[0:1]
	v_mul_hi_u32 v2, s18, v20
	v_add3_u32 v2, v8, v2, s25
	v_lshrrev_b32_e32 v2, s10, v2
	v_cmp_eq_u32_e32 vcc, s6, v5
	v_cmp_gt_i32_e64 s[0:1], s26, v2
	s_and_b64 s[34:35], vcc, s[0:1]
	s_and_saveexec_b64 s[0:1], s[34:35]
	s_cbranch_execz .LBB39_40
; %bb.39:                               ;   in Loop: Header=BB39_24 Depth=1
	v_mad_u64_u32 v[4:5], s[34:35], s19, v2, v[8:9]
	v_add_u16_e32 v3, 1, v4
	global_store_byte v2, v3, s[14:15]
.LBB39_40:                              ;   in Loop: Header=BB39_24 Depth=1
	s_or_b64 exec, exec, s[0:1]
	v_add_co_u32_e32 v2, vcc, 0x4000, v10
	v_addc_co_u32_e32 v3, vcc, 0, v11, vcc
	;; [unrolled: 59-line block ×3, first 2 shown]
	global_load_dwordx4 v[2:5], v[2:3], off
	v_mul_hi_u32 v24, s18, v13
	v_add3_u32 v24, v8, v24, -3
	v_lshrrev_b32_e32 v24, s10, v24
	v_cmp_gt_i32_e64 s[0:1], s26, v24
	s_waitcnt vmcnt(0)
	v_cmp_eq_u32_e32 vcc, s6, v2
	s_and_b64 s[34:35], vcc, s[0:1]
	s_and_saveexec_b64 s[0:1], s[34:35]
	s_cbranch_execz .LBB39_50
; %bb.49:                               ;   in Loop: Header=BB39_24 Depth=1
	v_mad_u64_u32 v[26:27], s[34:35], s19, v24, v[8:9]
	v_add_u16_e32 v2, -2, v26
	global_store_byte v24, v2, s[14:15]
.LBB39_50:                              ;   in Loop: Header=BB39_24 Depth=1
	s_or_b64 exec, exec, s[0:1]
	v_mul_hi_u32 v2, s18, v12
	v_add3_u32 v2, v8, v2, -2
	v_lshrrev_b32_e32 v2, s10, v2
	v_cmp_eq_u32_e32 vcc, s6, v3
	v_cmp_gt_i32_e64 s[0:1], s26, v2
	s_and_b64 s[34:35], vcc, s[0:1]
	s_and_saveexec_b64 s[0:1], s[34:35]
	s_cbranch_execz .LBB39_52
; %bb.51:                               ;   in Loop: Header=BB39_24 Depth=1
	v_mad_u64_u32 v[24:25], s[34:35], s19, v2, v[8:9]
	v_add_u16_e32 v3, -1, v24
	global_store_byte v2, v3, s[14:15]
.LBB39_52:                              ;   in Loop: Header=BB39_24 Depth=1
	s_or_b64 exec, exec, s[0:1]
	v_mul_hi_u32 v2, s18, v9
	v_add3_u32 v2, v8, v2, -1
	v_lshrrev_b32_e32 v2, s10, v2
	v_cmp_eq_u32_e32 vcc, s6, v4
	v_cmp_gt_i32_e64 s[0:1], s26, v2
	s_and_b64 s[34:35], vcc, s[0:1]
	s_and_saveexec_b64 s[0:1], s[34:35]
	s_cbranch_execz .LBB39_54
; %bb.53:                               ;   in Loop: Header=BB39_24 Depth=1
	v_mad_u64_u32 v[24:25], s[34:35], s19, v2, v[8:9]
	global_store_byte v2, v24, s[14:15]
.LBB39_54:                              ;   in Loop: Header=BB39_24 Depth=1
	s_or_b64 exec, exec, s[0:1]
	v_mul_hi_u32 v2, s18, v8
	v_add_u32_e32 v2, v8, v2
	v_lshrrev_b32_e32 v2, s10, v2
	v_cmp_eq_u32_e32 vcc, s6, v5
	v_cmp_gt_i32_e64 s[0:1], s26, v2
	s_and_b64 s[34:35], vcc, s[0:1]
	s_and_saveexec_b64 s[0:1], s[34:35]
	s_cbranch_execz .LBB39_23
; %bb.55:                               ;   in Loop: Header=BB39_24 Depth=1
	v_mad_u64_u32 v[4:5], s[34:35], s19, v2, v[8:9]
	v_add_u16_e32 v3, 1, v4
	global_store_byte v2, v3, s[14:15]
	s_branch .LBB39_23
.LBB39_56:
	s_or_b64 exec, exec, s[16:17]
	s_ashr_i32 s0, s27, 5
	s_cmp_lt_i32 s26, 1
	s_barrier
	s_cbranch_scc1 .LBB39_61
; %bb.57:
	s_lshl_b32 s8, s0, 3
	s_add_i32 s0, s8, 0x1ff
	s_lshr_b32 s0, s0, 9
	v_mbcnt_lo_u32_b32 v2, -1, 0
	v_mbcnt_hi_u32_b32 v2, -1, v2
	s_max_u32 s9, s0, 1
	v_lshlrev_b32_e32 v2, 2, v2
	s_add_u32 s0, s2, s7
	v_xor_b32_e32 v4, 4, v2
	v_xor_b32_e32 v5, 8, v2
	;; [unrolled: 1-line block ×6, first 2 shown]
	v_lshlrev_b32_e32 v2, 2, v0
	s_addc_u32 s1, s3, s11
	v_mov_b32_e32 v3, s1
	v_add_co_u32_e32 v2, vcc, s0, v2
	v_mov_b32_e32 v1, 0
	v_addc_co_u32_e32 v3, vcc, 0, v3, vcc
	s_movk_i32 s2, 0xff
	v_mov_b32_e32 v11, v0
	v_mov_b32_e32 v6, 0
	s_branch .LBB39_59
.LBB39_58:                              ;   in Loop: Header=BB39_59 Depth=1
	s_or_b64 exec, exec, s[0:1]
	s_waitcnt vmcnt(0)
	v_lshrrev_b32_e32 v13, 8, v12
	v_cmp_ne_u16_sdwa s[0:1], v13, v1 src0_sel:BYTE_0 src1_sel:DWORD
	v_cndmask_b32_e64 v13, 0, 1, s[0:1]
	v_cmp_ne_u16_sdwa vcc, v12, v1 src0_sel:BYTE_0 src1_sel:DWORD
	v_addc_co_u32_e32 v13, vcc, 0, v13, vcc
	v_and_b32_sdwa v14, v12, s2 dst_sel:DWORD dst_unused:UNUSED_PAD src0_sel:WORD_1 src1_sel:DWORD
	v_cmp_ne_u16_e32 vcc, 0, v14
	v_cndmask_b32_e64 v14, 0, 1, vcc
	v_cmp_ne_u16_sdwa vcc, v12, v1 src0_sel:BYTE_3 src1_sel:DWORD
	v_addc_co_u32_e32 v12, vcc, v13, v14, vcc
	ds_bpermute_b32 v13, v4, v12
	s_add_i32 s9, s9, -1
	v_add_co_u32_e32 v2, vcc, 0x800, v2
	v_addc_co_u32_e32 v3, vcc, 0, v3, vcc
	s_waitcnt lgkmcnt(0)
	v_add_u32_e32 v12, v12, v13
	ds_bpermute_b32 v13, v5, v12
	s_cmp_eq_u32 s9, 0
	v_add_u32_e32 v11, 0x200, v11
	s_waitcnt lgkmcnt(0)
	v_add_u32_e32 v12, v12, v13
	ds_bpermute_b32 v13, v7, v12
	s_waitcnt lgkmcnt(0)
	v_add_u32_e32 v12, v12, v13
	ds_bpermute_b32 v13, v8, v12
	;; [unrolled: 3-line block ×4, first 2 shown]
	s_waitcnt lgkmcnt(0)
	v_add3_u32 v6, v13, v6, v12
	s_cbranch_scc1 .LBB39_62
.LBB39_59:                              ; =>This Inner Loop Header: Depth=1
	v_cmp_gt_i32_e32 vcc, s8, v11
	v_mov_b32_e32 v12, 0
	s_and_saveexec_b64 s[0:1], vcc
	s_cbranch_execz .LBB39_58
; %bb.60:                               ;   in Loop: Header=BB39_59 Depth=1
	global_load_dword v12, v[2:3], off
	s_branch .LBB39_58
.LBB39_61:
	v_mov_b32_e32 v6, 0
.LBB39_62:
	v_and_b32_e32 v1, 63, v0
	v_cmp_eq_u32_e32 vcc, 0, v1
	s_and_saveexec_b64 s[0:1], vcc
	s_cbranch_execz .LBB39_64
; %bb.63:
	v_lshrrev_b32_e32 v1, 4, v0
	v_and_b32_e32 v1, 60, v1
	ds_write_b32 v1, v6
.LBB39_64:
	s_or_b64 exec, exec, s[0:1]
	v_cmp_eq_u32_e32 vcc, 0, v0
	s_waitcnt lgkmcnt(0)
	s_barrier
	s_and_saveexec_b64 s[0:1], vcc
	s_cbranch_execz .LBB39_66
; %bb.65:
	v_mov_b32_e32 v8, 0
	ds_read_b128 v[0:3], v8
	ds_read_b128 v[4:7], v8 offset:16
	s_ashr_i32 s7, s6, 31
	s_lshl_b64 s[0:1], s[6:7], 2
	s_add_u32 s0, s4, s0
	s_waitcnt lgkmcnt(1)
	v_add_u32_e32 v0, v1, v0
	v_add_u32_e32 v0, v0, v2
	;; [unrolled: 1-line block ×3, first 2 shown]
	s_waitcnt lgkmcnt(0)
	v_add_u32_e32 v0, v0, v4
	v_add_u32_e32 v0, v0, v5
	;; [unrolled: 1-line block ×4, first 2 shown]
	s_addc_u32 s1, s5, s1
	global_store_dword v8, v0, s[0:1]
.LBB39_66:
	s_endpgm
	.section	.rodata,"a",@progbits
	.p2align	6, 0x0
	.amdhsa_kernel _ZN5aiter22opus_moe_sorting_entryINS_32MoeSortingMultiPhaseKernel_P0_v2INS_19MoeSortingProblemMpIifhLi4ELb0ELb1ELb1EEEEENS4_5KargsEEEvT0_
		.amdhsa_group_segment_fixed_size 32
		.amdhsa_private_segment_fixed_size 0
		.amdhsa_kernarg_size 72
		.amdhsa_user_sgpr_count 6
		.amdhsa_user_sgpr_private_segment_buffer 1
		.amdhsa_user_sgpr_dispatch_ptr 0
		.amdhsa_user_sgpr_queue_ptr 0
		.amdhsa_user_sgpr_kernarg_segment_ptr 1
		.amdhsa_user_sgpr_dispatch_id 0
		.amdhsa_user_sgpr_flat_scratch_init 0
		.amdhsa_user_sgpr_kernarg_preload_length 0
		.amdhsa_user_sgpr_kernarg_preload_offset 0
		.amdhsa_user_sgpr_private_segment_size 0
		.amdhsa_uses_dynamic_stack 0
		.amdhsa_system_sgpr_private_segment_wavefront_offset 0
		.amdhsa_system_sgpr_workgroup_id_x 1
		.amdhsa_system_sgpr_workgroup_id_y 0
		.amdhsa_system_sgpr_workgroup_id_z 0
		.amdhsa_system_sgpr_workgroup_info 0
		.amdhsa_system_vgpr_workitem_id 0
		.amdhsa_next_free_vgpr 32
		.amdhsa_next_free_sgpr 36
		.amdhsa_accum_offset 32
		.amdhsa_reserve_vcc 1
		.amdhsa_reserve_flat_scratch 0
		.amdhsa_float_round_mode_32 0
		.amdhsa_float_round_mode_16_64 0
		.amdhsa_float_denorm_mode_32 3
		.amdhsa_float_denorm_mode_16_64 3
		.amdhsa_dx10_clamp 1
		.amdhsa_ieee_mode 1
		.amdhsa_fp16_overflow 0
		.amdhsa_tg_split 0
		.amdhsa_exception_fp_ieee_invalid_op 0
		.amdhsa_exception_fp_denorm_src 0
		.amdhsa_exception_fp_ieee_div_zero 0
		.amdhsa_exception_fp_ieee_overflow 0
		.amdhsa_exception_fp_ieee_underflow 0
		.amdhsa_exception_fp_ieee_inexact 0
		.amdhsa_exception_int_div_zero 0
	.end_amdhsa_kernel
	.section	.text._ZN5aiter22opus_moe_sorting_entryINS_32MoeSortingMultiPhaseKernel_P0_v2INS_19MoeSortingProblemMpIifhLi4ELb0ELb1ELb1EEEEENS4_5KargsEEEvT0_,"axG",@progbits,_ZN5aiter22opus_moe_sorting_entryINS_32MoeSortingMultiPhaseKernel_P0_v2INS_19MoeSortingProblemMpIifhLi4ELb0ELb1ELb1EEEEENS4_5KargsEEEvT0_,comdat
.Lfunc_end39:
	.size	_ZN5aiter22opus_moe_sorting_entryINS_32MoeSortingMultiPhaseKernel_P0_v2INS_19MoeSortingProblemMpIifhLi4ELb0ELb1ELb1EEEEENS4_5KargsEEEvT0_, .Lfunc_end39-_ZN5aiter22opus_moe_sorting_entryINS_32MoeSortingMultiPhaseKernel_P0_v2INS_19MoeSortingProblemMpIifhLi4ELb0ELb1ELb1EEEEENS4_5KargsEEEvT0_
                                        ; -- End function
	.section	.AMDGPU.csdata,"",@progbits
; Kernel info:
; codeLenInByte = 3156
; NumSgprs: 40
; NumVgprs: 32
; NumAgprs: 0
; TotalNumVgprs: 32
; ScratchSize: 0
; MemoryBound: 0
; FloatMode: 240
; IeeeMode: 1
; LDSByteSize: 32 bytes/workgroup (compile time only)
; SGPRBlocks: 4
; VGPRBlocks: 3
; NumSGPRsForWavesPerEU: 40
; NumVGPRsForWavesPerEU: 32
; AccumOffset: 32
; Occupancy: 8
; WaveLimiterHint : 1
; COMPUTE_PGM_RSRC2:SCRATCH_EN: 0
; COMPUTE_PGM_RSRC2:USER_SGPR: 6
; COMPUTE_PGM_RSRC2:TRAP_HANDLER: 0
; COMPUTE_PGM_RSRC2:TGID_X_EN: 1
; COMPUTE_PGM_RSRC2:TGID_Y_EN: 0
; COMPUTE_PGM_RSRC2:TGID_Z_EN: 0
; COMPUTE_PGM_RSRC2:TIDIG_COMP_CNT: 0
; COMPUTE_PGM_RSRC3_GFX90A:ACCUM_OFFSET: 7
; COMPUTE_PGM_RSRC3_GFX90A:TG_SPLIT: 0
	.section	.text._ZN5aiter22opus_moe_sorting_entryINS_30MoeSortingMultiPhaseKernel_P23INS_19MoeSortingProblemMpIifhLi16ELb0ELb1ELb1EEEEENS4_5KargsEEEvT0_,"axG",@progbits,_ZN5aiter22opus_moe_sorting_entryINS_30MoeSortingMultiPhaseKernel_P23INS_19MoeSortingProblemMpIifhLi16ELb0ELb1ELb1EEEEENS4_5KargsEEEvT0_,comdat
	.protected	_ZN5aiter22opus_moe_sorting_entryINS_30MoeSortingMultiPhaseKernel_P23INS_19MoeSortingProblemMpIifhLi16ELb0ELb1ELb1EEEEENS4_5KargsEEEvT0_ ; -- Begin function _ZN5aiter22opus_moe_sorting_entryINS_30MoeSortingMultiPhaseKernel_P23INS_19MoeSortingProblemMpIifhLi16ELb0ELb1ELb1EEEEENS4_5KargsEEEvT0_
	.globl	_ZN5aiter22opus_moe_sorting_entryINS_30MoeSortingMultiPhaseKernel_P23INS_19MoeSortingProblemMpIifhLi16ELb0ELb1ELb1EEEEENS4_5KargsEEEvT0_
	.p2align	8
	.type	_ZN5aiter22opus_moe_sorting_entryINS_30MoeSortingMultiPhaseKernel_P23INS_19MoeSortingProblemMpIifhLi16ELb0ELb1ELb1EEEEENS4_5KargsEEEvT0_,@function
_ZN5aiter22opus_moe_sorting_entryINS_30MoeSortingMultiPhaseKernel_P23INS_19MoeSortingProblemMpIifhLi16ELb0ELb1ELb1EEEEENS4_5KargsEEEvT0_: ; @_ZN5aiter22opus_moe_sorting_entryINS_30MoeSortingMultiPhaseKernel_P23INS_19MoeSortingProblemMpIifhLi16ELb0ELb1ELb1EEEEENS4_5KargsEEEvT0_
; %bb.0:
	s_load_dwordx16 s[36:51], s[4:5], 0x18
	s_load_dword s7, s[4:5], 0x64
	s_mov_b64 s[0:1], -1
	s_waitcnt lgkmcnt(0)
	s_load_dword s33, s[36:37], 0x0
	s_cmp_lt_i32 s6, s7
	s_cbranch_scc1 .LBB40_5
; %bb.1:
	s_load_dwordx2 s[0:1], s[4:5], 0x84
	s_sub_i32 s8, s6, s7
	v_lshl_add_u32 v2, s8, 8, v0
	v_mov_b32_e32 v3, 0
	s_waitcnt lgkmcnt(0)
	s_ashr_i32 s2, s0, 31
	s_mul_hi_i32 s3, s1, s33
	s_mul_i32 s1, s1, s33
	s_mul_i32 s2, s1, s2
	s_mul_hi_u32 s9, s1, s0
	s_add_i32 s2, s9, s2
	s_mul_i32 s3, s3, s0
	s_add_i32 s2, s2, s3
	s_mul_i32 s1, s1, s0
	s_ashr_i32 s0, s2, 31
	s_lshr_b32 s0, s0, 28
	s_add_u32 s0, s1, s0
	s_addc_u32 s1, s2, 0
	s_ashr_i64 s[2:3], s[0:1], 4
	v_cmp_gt_i64_e32 vcc, s[2:3], v[2:3]
	s_and_saveexec_b64 s[8:9], vcc
	s_cbranch_execz .LBB40_4
; %bb.2:
	s_load_dword s0, s[4:5], 0x90
	v_lshlrev_b64 v[4:5], 4, v[2:3]
	v_mov_b32_e32 v1, s51
	v_add_co_u32_e32 v8, vcc, s50, v4
	s_waitcnt lgkmcnt(0)
	s_sub_i32 s0, s0, s7
	s_lshl_b32 s10, s0, 8
	s_ashr_i32 s11, s10, 31
	s_lshl_b64 s[12:13], s[10:11], 4
	v_pk_mov_b32 v[6:7], v[2:3], v[2:3] op_sel:[0,1]
	v_addc_co_u32_e32 v9, vcc, v1, v5, vcc
	s_mov_b64 s[14:15], 0
	v_mov_b32_e32 v2, v3
	v_mov_b32_e32 v4, v3
	;; [unrolled: 1-line block ×5, first 2 shown]
.LBB40_3:                               ; =>This Inner Loop Header: Depth=1
	v_add_co_u32_e32 v6, vcc, s10, v6
	v_addc_co_u32_e32 v7, vcc, v7, v1, vcc
	global_store_dwordx4 v[8:9], v[2:5], off
	v_add_co_u32_e32 v8, vcc, s12, v8
	v_cmp_le_i64_e64 s[0:1], s[2:3], v[6:7]
	s_or_b64 s[14:15], s[0:1], s[14:15]
	v_addc_co_u32_e32 v9, vcc, v9, v10, vcc
	s_andn2_b64 exec, exec, s[14:15]
	s_cbranch_execnz .LBB40_3
.LBB40_4:
	s_or_b64 exec, exec, s[8:9]
	s_mov_b64 s[0:1], 0
.LBB40_5:
	s_andn2_b64 vcc, exec, s[0:1]
	s_cbranch_vccnz .LBB40_90
; %bb.6:
	s_load_dwordx2 s[22:23], s[4:5], 0x58
	s_load_dwordx4 s[28:31], s[4:5], 0x6c
	s_lshl_b32 s0, s7, 2
	s_add_i32 s56, s0, 0
	s_add_i32 s56, s56, 48
	s_mov_b32 s52, 0
	v_lshrrev_b32_e32 v8, 6, v0
	s_cmp_lt_i32 s7, 1
	v_and_b32_e32 v10, 63, v0
	s_cbranch_scc1 .LBB40_29
; %bb.7:
	s_add_i32 s0, s7, 0xff
	s_lshr_b32 s53, s0, 8
	s_waitcnt lgkmcnt(0)
	s_add_i32 s54, s28, -1
	v_mbcnt_lo_u32_b32 v2, -1, 0
	v_mbcnt_hi_u32_b32 v2, -1, v2
	s_cmp_lg_u64 s[22:23], 0
	v_lshlrev_b32_e32 v3, 2, v2
	s_cselect_b64 s[16:17], -1, 0
	s_movk_i32 s14, 0xff
	v_and_b32_e32 v3, 0xc0, v3
	v_cmp_lt_u32_e64 s[0:1], 15, v2
	v_cmp_lt_u32_e64 s[2:3], 31, v2
	s_movk_i32 s10, 0x7f
	s_movk_i32 s12, 0xbf
	s_cmp_eq_u32 s6, 0
	v_cndmask_b32_e64 v2, 0, 1, s[16:17]
	v_mov_b32_e32 v1, 0
	v_add_u32_e32 v9, -4, v3
	v_add_u32_e32 v11, 0xffffffbc, v3
	v_cmp_eq_u32_e64 s[18:19], 63, v10
	v_lshl_add_u32 v12, v8, 2, 0
	v_cmp_gt_u32_e64 s[8:9], 64, v0
	v_cmp_lt_u32_e64 s[10:11], s10, v0
	v_cmp_lt_u32_e64 s[12:13], s12, v0
	v_cmp_eq_u32_e64 s[14:15], s14, v0
	s_cselect_b64 s[24:25], -1, 0
	s_add_i32 s55, s56, 4
	v_mov_b32_e32 v13, 0
	v_cmp_ne_u32_e64 s[16:17], 1, v2
	v_mov_b32_e32 v14, 0
	v_mov_b32_e32 v3, 0
.LBB40_8:                               ; =>This Loop Header: Depth=1
                                        ;     Child Loop BB40_21 Depth 2
                                        ;     Child Loop BB40_26 Depth 2
	v_lshl_add_u32 v4, s52, 8, v0
	v_cmp_gt_i32_e32 vcc, s7, v4
	v_mov_b32_e32 v2, 0
	s_and_saveexec_b64 s[26:27], vcc
	s_cbranch_execz .LBB40_10
; %bb.9:                                ;   in Loop: Header=BB40_8 Depth=1
	v_ashrrev_i32_e32 v5, 31, v4
	v_lshlrev_b64 v[6:7], 2, v[4:5]
	v_mov_b32_e32 v2, s41
	v_add_co_u32_e64 v6, s[20:21], s40, v6
	v_addc_co_u32_e64 v7, s[20:21], v2, v7, s[20:21]
	global_load_dword v2, v[6:7], off
.LBB40_10:                              ;   in Loop: Header=BB40_8 Depth=1
	s_or_b64 exec, exec, s[26:27]
	s_waitcnt vmcnt(0)
	v_add_u32_e32 v2, s54, v2
	v_mul_hi_u32 v5, v2, s29
	v_add_u32_e32 v2, v2, v5
	v_lshrrev_b32_e32 v17, s30, v2
	v_mov_b32_dpp v6, v13 row_shr:1 row_mask:0xf bank_mask:0xf bound_ctrl:1
	s_nop 0
	v_mov_b32_dpp v15, v17 row_shr:1 row_mask:0xf bank_mask:0xf bound_ctrl:1
	v_add_u32_e32 v2, v17, v15
	v_add_u32_dpp v6, v6, v6 row_shr:2 row_mask:0xf bank_mask:0xf bound_ctrl:1
	s_barrier
	v_mov_b32_dpp v16, v2 row_shr:2 row_mask:0xf bank_mask:0xf bound_ctrl:1
	v_add_u32_e32 v2, v2, v16
	v_add_u32_dpp v6, v6, v6 row_shr:4 row_mask:0xf bank_mask:0xf bound_ctrl:1
	s_nop 0
	v_mov_b32_dpp v18, v2 row_shr:4 row_mask:0xf bank_mask:0xf bound_ctrl:1
	v_add_u32_e32 v2, v2, v18
	v_add_u32_dpp v6, v6, v6 row_shr:8 row_mask:0xf bank_mask:0xf bound_ctrl:1
	ds_bpermute_b32 v7, v9, v6
	v_mov_b32_dpp v19, v2 row_shr:8 row_mask:0xf bank_mask:0xf bound_ctrl:1
	v_add_u32_e32 v2, v2, v19
	ds_bpermute_b32 v5, v9, v2
	s_waitcnt lgkmcnt(1)
	v_cndmask_b32_e64 v7, 0, v7, s[0:1]
	v_add_u32_e32 v6, v7, v6
	ds_bpermute_b32 v7, v11, v6
	s_waitcnt lgkmcnt(1)
	v_cndmask_b32_e64 v20, 0, v5, s[0:1]
	;; [unrolled: 4-line block ×3, first 2 shown]
	v_add_u32_e32 v5, v2, v21
	v_cndmask_b32_e64 v2, 0, v7, s[2:3]
	v_add_u32_e32 v2, v2, v6
	s_and_saveexec_b64 s[20:21], s[18:19]
	s_cbranch_execz .LBB40_12
; %bb.11:                               ;   in Loop: Header=BB40_8 Depth=1
	ds_write2_b32 v12, v5, v2 offset0:4 offset1:8
.LBB40_12:                              ;   in Loop: Header=BB40_8 Depth=1
	s_or_b64 exec, exec, s[20:21]
	s_waitcnt lgkmcnt(0)
	s_barrier
	ds_read2_b32 v[6:7], v1 offset0:4 offset1:5
	ds_read_b32 v24, v1 offset:24
	s_waitcnt lgkmcnt(1)
	v_cndmask_b32_e64 v22, v6, 0, s[8:9]
	v_cndmask_b32_e64 v23, 0, v7, s[10:11]
	s_waitcnt lgkmcnt(0)
	v_cndmask_b32_e64 v24, 0, v24, s[12:13]
	v_add3_u32 v5, v5, v14, v22
	v_add3_u32 v5, v5, v23, v24
	s_and_saveexec_b64 s[20:21], s[14:15]
	s_cbranch_execz .LBB40_14
; %bb.13:                               ;   in Loop: Header=BB40_8 Depth=1
	ds_read2_b32 v[6:7], v1 offset0:8 offset1:9
	ds_read_b32 v25, v1 offset:40
	s_waitcnt lgkmcnt(0)
	v_add_u32_e32 v7, v25, v7
	v_add_u32_e32 v6, v7, v6
	;; [unrolled: 1-line block ×4, first 2 shown]
	ds_write2_b32 v1, v5, v2 offset0:2 offset1:3
.LBB40_14:                              ;   in Loop: Header=BB40_8 Depth=1
	s_or_b64 exec, exec, s[20:21]
	s_waitcnt lgkmcnt(0)
	s_barrier
	ds_read2_b32 v[2:3], v1 offset0:2 offset1:3
	s_and_saveexec_b64 s[20:21], vcc
	s_cbranch_execz .LBB40_17
; %bb.15:                               ;   in Loop: Header=BB40_8 Depth=1
	v_sub_u32_e32 v5, v5, v17
	v_mul_lo_u32 v5, v5, s28
	v_lshl_add_u32 v6, v4, 2, 0
	s_and_b64 vcc, exec, s[16:17]
	ds_write_b32 v6, v5 offset:48
	s_cbranch_vccnz .LBB40_17
; %bb.16:                               ;   in Loop: Header=BB40_8 Depth=1
	v_lshl_add_u32 v5, v4, 2, s55
	ds_write_b32 v5, v4
.LBB40_17:                              ;   in Loop: Header=BB40_8 Depth=1
	s_or_b64 exec, exec, s[20:21]
	v_cmp_lt_i32_e32 vcc, 0, v17
	s_and_b64 s[26:27], s[24:25], vcc
	s_and_saveexec_b64 s[20:21], s[26:27]
	s_cbranch_execz .LBB40_27
; %bb.18:                               ;   in Loop: Header=BB40_8 Depth=1
	v_cmp_gt_u32_e64 s[26:27], 10, v17
	v_cmp_lt_u32_e32 vcc, 9, v17
	v_mov_b32_e32 v25, 0
	s_and_saveexec_b64 s[34:35], vcc
	s_cbranch_execz .LBB40_24
; %bb.19:                               ;   in Loop: Header=BB40_8 Depth=1
	v_add_u32_e32 v5, v20, v21
	v_add3_u32 v5, v5, v23, v24
	v_add3_u32 v5, v5, v22, v15
	;; [unrolled: 1-line block ×4, first 2 shown]
	v_add3_u32 v5, v17, v6, -1
	v_cmp_ge_i32_e32 vcc, v5, v6
	s_mov_b64 s[50:51], -1
	v_mov_b32_e32 v25, 0
	s_and_saveexec_b64 s[36:37], vcc
	s_cbranch_execz .LBB40_23
; %bb.20:                               ;   in Loop: Header=BB40_8 Depth=1
	v_and_b32_e32 v25, 0x7ffffffe, v17
	v_mov_b32_e32 v5, v4
	s_mov_b64 s[50:51], 0
	v_mov_b32_e32 v26, v25
.LBB40_21:                              ;   Parent Loop BB40_8 Depth=1
                                        ; =>  This Inner Loop Header: Depth=2
	v_ashrrev_i32_e32 v7, 31, v6
	v_lshlrev_b64 v[28:29], 2, v[6:7]
	v_mov_b32_e32 v7, s45
	v_add_co_u32_e32 v28, vcc, s44, v28
	v_addc_co_u32_e32 v29, vcc, v7, v29, vcc
	v_add_u32_e32 v26, -2, v26
	v_cmp_eq_u32_e32 vcc, 0, v26
	s_or_b64 s[50:51], vcc, s[50:51]
	v_add_u32_e32 v6, 2, v6
	global_store_dwordx2 v[28:29], v[4:5], off
	s_andn2_b64 exec, exec, s[50:51]
	s_cbranch_execnz .LBB40_21
; %bb.22:                               ;   in Loop: Header=BB40_8 Depth=1
	s_or_b64 exec, exec, s[50:51]
	v_cmp_ne_u32_e32 vcc, v17, v25
	s_orn2_b64 s[50:51], vcc, exec
.LBB40_23:                              ;   in Loop: Header=BB40_8 Depth=1
	s_or_b64 exec, exec, s[36:37]
	s_andn2_b64 s[26:27], s[26:27], exec
	s_and_b64 s[36:37], s[50:51], exec
	s_or_b64 s[26:27], s[26:27], s[36:37]
.LBB40_24:                              ;   in Loop: Header=BB40_8 Depth=1
	s_or_b64 exec, exec, s[34:35]
	s_and_b64 exec, exec, s[26:27]
	s_cbranch_execz .LBB40_27
; %bb.25:                               ;   in Loop: Header=BB40_8 Depth=1
	v_add3_u32 v6, v14, v20, v21
	v_add3_u32 v6, v6, v23, v24
	v_add3_u32 v6, v6, v22, v15
	v_add3_u32 v6, v6, v16, v18
	v_sub_u32_e32 v5, v17, v25
	v_add3_u32 v6, v6, v19, v25
	s_mov_b64 s[26:27], 0
.LBB40_26:                              ;   Parent Loop BB40_8 Depth=1
                                        ; =>  This Inner Loop Header: Depth=2
	v_ashrrev_i32_e32 v7, 31, v6
	v_lshlrev_b64 v[14:15], 2, v[6:7]
	v_mov_b32_e32 v7, s45
	v_add_co_u32_e32 v14, vcc, s44, v14
	v_addc_co_u32_e32 v15, vcc, v7, v15, vcc
	v_add_u32_e32 v5, -1, v5
	v_cmp_eq_u32_e32 vcc, 0, v5
	s_or_b64 s[26:27], vcc, s[26:27]
	v_add_u32_e32 v6, 1, v6
	global_store_dword v[14:15], v4, off
	s_andn2_b64 exec, exec, s[26:27]
	s_cbranch_execnz .LBB40_26
.LBB40_27:                              ;   in Loop: Header=BB40_8 Depth=1
	s_or_b64 exec, exec, s[20:21]
	s_add_i32 s52, s52, 1
	s_cmp_eq_u32 s52, s53
	s_cbranch_scc1 .LBB40_30
; %bb.28:                               ;   in Loop: Header=BB40_8 Depth=1
	s_waitcnt lgkmcnt(0)
	v_mov_b32_e32 v14, v2
	s_branch .LBB40_8
.LBB40_29:
	v_mov_b32_e32 v2, 0
.LBB40_30:
	s_load_dwordx4 s[52:55], s[4:5], 0x0
	v_cmp_eq_u32_e32 vcc, 0, v0
	s_and_saveexec_b64 s[0:1], vcc
	s_cbranch_execz .LBB40_34
; %bb.31:
	s_cmp_lg_u32 s6, 0
	s_waitcnt lgkmcnt(0)
	v_mul_lo_u32 v2, v2, s28
	s_cbranch_scc1 .LBB40_33
; %bb.32:
	v_mov_b32_e32 v1, 0
	v_mov_b32_e32 v3, s33
	global_store_dwordx2 v1, v[2:3], s[42:43]
.LBB40_33:
	v_mov_b32_e32 v1, s56
	ds_write_b32 v1, v2
.LBB40_34:
	s_or_b64 exec, exec, s[0:1]
	s_waitcnt lgkmcnt(0)
	s_cmp_eq_u64 s[22:23], 0
	s_cselect_b64 s[0:1], -1, 0
	s_cmp_lg_u32 s6, 0
	s_cselect_b64 s[2:3], -1, 0
	s_or_b64 s[0:1], s[2:3], s[0:1]
	s_and_b64 vcc, exec, s[0:1]
	s_barrier
	s_cbranch_vccnz .LBB40_39
; %bb.35:
	s_mul_i32 s4, s33, s31
	v_cmp_gt_i32_e32 vcc, s4, v0
	s_and_saveexec_b64 s[0:1], vcc
	s_cbranch_execz .LBB40_38
; %bb.36:
	v_lshlrev_b32_e32 v1, 2, v0
	v_mov_b32_e32 v3, s53
	v_add_co_u32_e32 v2, vcc, s52, v1
	v_addc_co_u32_e32 v3, vcc, 0, v3, vcc
	v_mov_b32_e32 v5, s23
	v_add_co_u32_e32 v4, vcc, s22, v1
	v_addc_co_u32_e32 v5, vcc, 0, v5, vcc
	s_mov_b64 s[2:3], 0
	v_mov_b32_e32 v1, v0
.LBB40_37:                              ; =>This Inner Loop Header: Depth=1
	global_load_dword v6, v[2:3], off
	v_add_co_u32_e32 v2, vcc, 0x400, v2
	v_add_u32_e32 v1, 0x100, v1
	v_addc_co_u32_e32 v3, vcc, 0, v3, vcc
	v_cmp_le_i32_e32 vcc, s4, v1
	s_or_b64 s[2:3], vcc, s[2:3]
	s_waitcnt vmcnt(0)
	v_max_i32_e32 v7, -1, v6
	v_cmp_gt_i32_e32 vcc, s7, v6
	v_cndmask_b32_e32 v6, -1, v7, vcc
	global_store_dword v[4:5], v6, off
	v_add_co_u32_e32 v4, vcc, 0x400, v4
	v_addc_co_u32_e32 v5, vcc, 0, v5, vcc
	s_andn2_b64 exec, exec, s[2:3]
	s_cbranch_execnz .LBB40_37
.LBB40_38:
	s_or_b64 exec, exec, s[0:1]
.LBB40_39:
	s_lshl_b32 s0, s6, 2
	s_add_i32 s0, s0, 0
	v_mov_b32_e32 v1, s0
	ds_read2_b32 v[6:7], v1 offset0:12 offset1:13
	s_waitcnt lgkmcnt(0)
	v_cmp_eq_u32_e32 vcc, v6, v7
	s_cbranch_vccnz .LBB40_90
; %bb.40:
	s_cmp_lt_i32 s33, 1
	s_cbranch_scc1 .LBB40_81
; %bb.41:
	s_add_i32 s0, s33, 31
	s_lshr_b32 s0, s0, 5
	s_lshl_b32 s1, s0, 1
	s_addk_i32 s1, 0xff
	s_mul_i32 s6, s6, s0
	s_lshr_b32 s30, s1, 8
	s_add_i32 s1, s33, 15
	s_lshl_b32 s0, s6, 5
	s_lshr_b32 s58, s1, 4
	s_ashr_i32 s1, s0, 31
	v_mbcnt_lo_u32_b32 v2, -1, 0
	s_add_u32 s59, s38, s0
	v_mbcnt_hi_u32_b32 v2, -1, v2
	v_lshl_add_u32 v45, v8, 2, 0
	v_lshlrev_b32_e32 v8, 4, v0
	s_addc_u32 s60, s39, s1
	v_lshlrev_b32_e32 v3, 2, v2
	v_cmp_lt_u32_e32 vcc, 15, v2
	v_cmp_lt_u32_e64 s[0:1], 31, v2
	v_or_b32_e32 v2, 15, v8
	v_cmp_eq_u32_e64 s[2:3], 63, v10
	v_mad_u64_u32 v[10:11], s[12:13], s31, v2, -1
	v_or_b32_e32 v2, 14, v8
	v_mad_u64_u32 v[14:15], s[12:13], s31, v2, -1
	v_or_b32_e32 v2, 13, v8
	;; [unrolled: 2-line block ×13, first 2 shown]
	v_mad_u64_u32 v[38:39], s[12:13], s31, v2, -1
	v_mul_lo_u32 v2, s31, v8
	s_movk_i32 s10, 0xff
	v_and_b32_e32 v3, 0xc0, v3
	s_movk_i32 s6, 0x7f
	s_movk_i32 s8, 0xbf
	v_add3_u32 v11, v2, s31, -1
	v_mul_lo_u32 v2, v0, s31
	s_mov_b32 s61, 0
	v_mov_b32_e32 v1, 0
	v_add_u32_e32 v9, -4, v3
	v_add_u32_e32 v44, 0xffffffbc, v3
	v_cmp_gt_u32_e64 s[4:5], 64, v0
	v_cmp_lt_u32_e64 s[6:7], s6, v0
	v_cmp_lt_u32_e64 s[8:9], s8, v0
	v_cmp_eq_u32_e64 s[10:11], s10, v0
	s_lshl_b32 s62, s31, 12
	v_mov_b32_e32 v13, 0
	v_lshl_add_u32 v15, v2, 4, -1
	s_mov_b64 s[34:35], 0
	s_mov_b32 s63, 0xffff
	s_mov_b32 s64, 0x4020100
	v_mov_b32_e32 v17, v0
	v_mov_b32_e32 v19, 0
	s_branch .LBB40_43
.LBB40_42:                              ;   in Loop: Header=BB40_43 Depth=1
	s_or_b64 exec, exec, s[14:15]
	s_add_i32 s61, s61, s62
	s_add_u32 s34, s34, 0x1000
	s_addc_u32 s35, s35, 0
	s_add_i32 s30, s30, -1
	s_add_u32 s59, s59, 0x1000
	s_addc_u32 s60, s60, 0
	s_cmp_eq_u32 s30, 0
	v_add_u32_e32 v17, 0x100, v17
	s_cbranch_scc1 .LBB40_82
.LBB40_43:                              ; =>This Inner Loop Header: Depth=1
	v_cmp_gt_u32_e64 s[12:13], s58, v17
	v_mov_b32_e32 v2, 0
	v_mov_b32_e32 v3, 0
	;; [unrolled: 1-line block ×4, first 2 shown]
	s_and_saveexec_b64 s[14:15], s[12:13]
	s_cbranch_execz .LBB40_45
; %bb.44:                               ;   in Loop: Header=BB40_43 Depth=1
	v_mov_b32_e32 v3, s60
	v_add_co_u32_e64 v2, s[12:13], s59, v8
	v_addc_co_u32_e64 v3, s[12:13], 0, v3, s[12:13]
	global_load_dwordx4 v[2:5], v[2:3], off
.LBB40_45:                              ;   in Loop: Header=BB40_43 Depth=1
	s_or_b64 exec, exec, s[14:15]
	s_waitcnt vmcnt(0)
	v_lshrrev_b32_e32 v53, 8, v2
	v_cmp_ne_u16_sdwa s[56:57], v53, v1 src0_sel:BYTE_0 src1_sel:DWORD
	v_lshrrev_b32_e32 v51, 16, v2
	v_lshrrev_b64 v[42:43], 24, v[2:3]
	v_cndmask_b32_e64 v25, 0, 1, s[56:57]
	v_cmp_ne_u16_sdwa s[26:27], v2, v1 src0_sel:BYTE_0 src1_sel:DWORD
	v_cmp_ne_u16_sdwa s[52:53], v51, v1 src0_sel:BYTE_0 src1_sel:DWORD
	v_and_b32_e32 v50, 0xff, v42
	v_lshrrev_b32_e32 v46, 16, v3
	v_lshrrev_b32_e32 v47, 8, v3
	v_addc_co_u32_e64 v25, s[12:13], 0, v25, s[26:27]
	v_cndmask_b32_e64 v27, 0, 1, s[52:53]
	v_cmp_ne_u16_e64 s[24:25], 0, v50
	v_cmp_ne_u16_sdwa s[50:51], v3, v1 src0_sel:BYTE_0 src1_sel:DWORD
	v_addc_co_u32_e64 v25, s[12:13], v25, v27, s[24:25]
	v_cndmask_b32_e64 v27, 0, 1, s[50:51]
	v_cmp_ne_u16_sdwa s[22:23], v47, v1 src0_sel:BYTE_0 src1_sel:DWORD
	v_cmp_ne_u16_sdwa s[44:45], v46, v1 src0_sel:BYTE_0 src1_sel:DWORD
	v_addc_co_u32_e64 v25, s[12:13], v25, v27, s[22:23]
	v_cndmask_b32_e64 v27, 0, 1, s[44:45]
	v_cmp_ne_u16_sdwa s[20:21], v3, v1 src0_sel:BYTE_3 src1_sel:DWORD
	v_cmp_ne_u16_sdwa s[42:43], v4, v1 src0_sel:BYTE_0 src1_sel:DWORD
	v_lshrrev_b32_e32 v37, 8, v4
	v_lshrrev_b32_e32 v33, 16, v4
	v_lshrrev_b64 v[40:41], 24, v[4:5]
	v_addc_co_u32_e64 v25, s[12:13], v25, v27, s[20:21]
	v_cndmask_b32_e64 v27, 0, 1, s[42:43]
	v_cmp_ne_u16_sdwa s[18:19], v37, v1 src0_sel:BYTE_0 src1_sel:DWORD
	v_cmp_ne_u16_sdwa s[40:41], v33, v1 src0_sel:BYTE_0 src1_sel:DWORD
	v_and_b32_e32 v31, 0xff, v40
	v_lshrrev_b32_e32 v23, 8, v5
	v_addc_co_u32_e64 v25, s[12:13], v25, v27, s[18:19]
	v_cndmask_b32_e64 v27, 0, 1, s[40:41]
	v_cmp_ne_u16_e64 s[16:17], 0, v31
	v_cmp_ne_u16_sdwa s[38:39], v5, v1 src0_sel:BYTE_0 src1_sel:DWORD
	v_lshrrev_b32_e32 v21, 16, v5
	v_addc_co_u32_e64 v25, s[12:13], v25, v27, s[16:17]
	v_cndmask_b32_e64 v27, 0, 1, s[38:39]
	v_cmp_ne_u16_sdwa s[14:15], v23, v1 src0_sel:BYTE_0 src1_sel:DWORD
	v_addc_co_u32_e64 v25, s[12:13], v25, v27, s[14:15]
	v_cmp_ne_u16_sdwa s[36:37], v21, v1 src0_sel:BYTE_0 src1_sel:DWORD
	v_cndmask_b32_e64 v27, 0, 1, s[36:37]
	v_cmp_ne_u16_sdwa s[12:13], v5, v1 src0_sel:BYTE_3 src1_sel:DWORD
	v_addc_co_u32_e64 v55, s[28:29], v25, v27, s[12:13]
	v_and_b32_e32 v12, 0xff, v2
	s_nop 0
	v_add_u32_dpp v25, v55, v55 row_shr:1 row_mask:0xf bank_mask:0xf bound_ctrl:1
	v_and_b32_e32 v54, 0xff, v53
	v_and_b32_e32 v52, 0xff, v51
	v_add_u32_dpp v25, v25, v25 row_shr:2 row_mask:0xf bank_mask:0xf bound_ctrl:1
	v_and_b32_e32 v49, 0xff, v3
	v_and_b32_e32 v48, 0xff, v47
	;; [unrolled: 3-line block ×3, first 2 shown]
	v_add_u32_dpp v25, v25, v25 row_shr:8 row_mask:0xf bank_mask:0xf bound_ctrl:1
	ds_bpermute_b32 v27, v9, v25
	v_and_b32_e32 v39, 0xff, v37
	v_and_b32_e32 v35, 0xff, v33
	;; [unrolled: 1-line block ×3, first 2 shown]
	s_waitcnt lgkmcnt(0)
	v_cndmask_b32_e32 v27, 0, v27, vcc
	v_add_u32_e32 v56, v25, v27
	ds_bpermute_b32 v57, v44, v56
	v_and_b32_e32 v27, 0xff, v23
	v_and_b32_e32 v25, 0xff, v21
	s_barrier
	s_waitcnt lgkmcnt(0)
	v_cndmask_b32_e64 v57, 0, v57, s[0:1]
	v_add_u32_e32 v56, v56, v57
	s_and_saveexec_b64 s[28:29], s[2:3]
	s_cbranch_execz .LBB40_47
; %bb.46:                               ;   in Loop: Header=BB40_43 Depth=1
	ds_write_b32 v45, v56 offset:16
.LBB40_47:                              ;   in Loop: Header=BB40_43 Depth=1
	s_or_b64 exec, exec, s[28:29]
	s_waitcnt lgkmcnt(0)
	s_barrier
	ds_read2_b32 v[58:59], v1 offset0:4 offset1:5
	ds_read_b32 v57, v1 offset:24
	s_waitcnt lgkmcnt(1)
	v_cndmask_b32_e64 v58, v58, 0, s[4:5]
	v_cndmask_b32_e64 v59, 0, v59, s[6:7]
	s_waitcnt lgkmcnt(0)
	v_cndmask_b32_e64 v57, 0, v57, s[8:9]
	v_add3_u32 v19, v56, v19, v58
	v_add3_u32 v56, v19, v59, v57
	s_and_saveexec_b64 s[28:29], s[10:11]
	s_cbranch_execz .LBB40_49
; %bb.48:                               ;   in Loop: Header=BB40_43 Depth=1
	ds_write_b32 v1, v56
.LBB40_49:                              ;   in Loop: Header=BB40_43 Depth=1
	s_or_b64 exec, exec, s[28:29]
	s_waitcnt lgkmcnt(0)
	s_barrier
	ds_read_b32 v19, v1
	v_sub_u32_e32 v56, v56, v55
	v_mov_b32_e32 v55, 0
	v_mov_b32_e32 v57, 0
	s_and_saveexec_b64 s[28:29], s[26:27]
	s_cbranch_execz .LBB40_51
; %bb.50:                               ;   in Loop: Header=BB40_43 Depth=1
	v_add3_u32 v12, v15, s61, v12
	v_lshlrev_b64 v[58:59], 2, v[12:13]
	v_mov_b32_e32 v12, s55
	v_add_co_u32_e64 v58, s[26:27], s54, v58
	v_addc_co_u32_e64 v59, s[26:27], v12, v59, s[26:27]
	global_load_dword v12, v[58:59], off
	v_add_u32_e32 v58, v56, v6
	v_ashrrev_i32_e32 v59, 31, v58
	v_add_u32_e32 v57, s34, v8
	v_lshlrev_b64 v[58:59], 2, v[58:59]
	v_mov_b32_e32 v61, s47
	v_and_b32_e32 v57, 0xfffff0, v57
	v_add_co_u32_e64 v60, s[26:27], s46, v58
	v_lshl_or_b32 v2, v2, 24, v57
	v_addc_co_u32_e64 v61, s[26:27], v61, v59, s[26:27]
	v_mov_b32_e32 v62, s49
	v_add_u32_e32 v2, 0xff000000, v2
	v_add_co_u32_e64 v58, s[26:27], s48, v58
	v_mov_b32_e32 v57, 1
	v_addc_co_u32_e64 v59, s[26:27], v62, v59, s[26:27]
	global_store_dword v[60:61], v2, off
	s_waitcnt vmcnt(1)
	global_store_dword v[58:59], v12, off
.LBB40_51:                              ;   in Loop: Header=BB40_43 Depth=1
	s_or_b64 exec, exec, s[28:29]
	v_add_u32_e32 v2, v57, v56
	s_and_saveexec_b64 s[28:29], s[56:57]
	s_cbranch_execz .LBB40_53
; %bb.52:                               ;   in Loop: Header=BB40_43 Depth=1
	v_add3_u32 v12, v11, s61, v54
	v_lshlrev_b64 v[54:55], 2, v[12:13]
	v_mov_b32_e32 v12, s55
	v_add_co_u32_e64 v54, s[26:27], s54, v54
	v_addc_co_u32_e64 v55, s[26:27], v12, v55, s[26:27]
	global_load_dword v12, v[54:55], off
	v_add_u32_e32 v56, v2, v6
	v_add3_u32 v54, v8, s34, 1
	v_ashrrev_i32_e32 v57, 31, v56
	v_and_b32_e32 v54, 0xfffff1, v54
	v_lshlrev_b64 v[56:57], 2, v[56:57]
	v_lshl_or_b32 v53, v53, 24, v54
	v_mov_b32_e32 v54, s47
	v_add_co_u32_e64 v58, s[26:27], s46, v56
	v_add_u32_e32 v53, 0xff000000, v53
	v_addc_co_u32_e64 v59, s[26:27], v54, v57, s[26:27]
	global_store_dword v[58:59], v53, off
	v_mov_b32_e32 v53, s49
	v_add_co_u32_e64 v56, s[26:27], s48, v56
	v_mov_b32_e32 v55, 1
	v_addc_co_u32_e64 v57, s[26:27], v53, v57, s[26:27]
	s_waitcnt vmcnt(1)
	global_store_dword v[56:57], v12, off
.LBB40_53:                              ;   in Loop: Header=BB40_43 Depth=1
	s_or_b64 exec, exec, s[28:29]
	v_add_u32_e32 v53, v55, v2
	v_mov_b32_e32 v2, 0
	v_mov_b32_e32 v12, 0
	s_and_saveexec_b64 s[28:29], s[52:53]
	s_cbranch_execz .LBB40_55
; %bb.54:                               ;   in Loop: Header=BB40_43 Depth=1
	v_add3_u32 v12, v38, s61, v52
	v_lshlrev_b64 v[54:55], 2, v[12:13]
	v_mov_b32_e32 v12, s55
	v_add_co_u32_e64 v54, s[26:27], s54, v54
	v_addc_co_u32_e64 v55, s[26:27], v12, v55, s[26:27]
	global_load_dword v12, v[54:55], off
	v_add_u32_e32 v54, v53, v6
	v_ashrrev_i32_e32 v55, 31, v54
	v_add3_u32 v52, v8, s34, 2
	v_lshlrev_b64 v[54:55], 2, v[54:55]
	v_mov_b32_e32 v57, s47
	v_and_b32_e32 v52, 0xfffff2, v52
	v_add_co_u32_e64 v56, s[26:27], s46, v54
	v_lshl_or_b32 v51, v51, 24, v52
	v_addc_co_u32_e64 v57, s[26:27], v57, v55, s[26:27]
	v_mov_b32_e32 v58, s49
	v_add_u32_e32 v51, 0xff000000, v51
	v_add_co_u32_e64 v54, s[26:27], s48, v54
	v_addc_co_u32_e64 v55, s[26:27], v58, v55, s[26:27]
	global_store_dword v[56:57], v51, off
	s_waitcnt vmcnt(1)
	global_store_dword v[54:55], v12, off
	v_mov_b32_e32 v12, 1
.LBB40_55:                              ;   in Loop: Header=BB40_43 Depth=1
	s_or_b64 exec, exec, s[28:29]
	v_add_u32_e32 v51, v12, v53
	s_and_saveexec_b64 s[26:27], s[24:25]
	s_cbranch_execz .LBB40_57
; %bb.56:                               ;   in Loop: Header=BB40_43 Depth=1
	v_add3_u32 v12, v36, s61, v50
	v_lshlrev_b64 v[52:53], 2, v[12:13]
	v_mov_b32_e32 v2, s55
	v_add_co_u32_e64 v52, s[24:25], s54, v52
	v_addc_co_u32_e64 v53, s[24:25], v2, v53, s[24:25]
	global_load_dword v2, v[52:53], off
	v_add_u32_e32 v52, v51, v6
	v_ashrrev_i32_e32 v53, 31, v52
	v_add3_u32 v12, v8, s34, 3
	v_lshlrev_b64 v[52:53], 2, v[52:53]
	v_mov_b32_e32 v50, s47
	v_and_b32_e32 v12, 0xfffff3, v12
	v_add_co_u32_e64 v54, s[24:25], s46, v52
	v_lshl_or_b32 v12, v42, 24, v12
	v_addc_co_u32_e64 v55, s[24:25], v50, v53, s[24:25]
	v_mov_b32_e32 v56, s49
	v_add_u32_e32 v12, 0xff000000, v12
	v_add_co_u32_e64 v52, s[24:25], s48, v52
	v_addc_co_u32_e64 v53, s[24:25], v56, v53, s[24:25]
	global_store_dword v[54:55], v12, off
	s_waitcnt vmcnt(1)
	global_store_dword v[52:53], v2, off
	v_mov_b32_e32 v2, 1
.LBB40_57:                              ;   in Loop: Header=BB40_43 Depth=1
	s_or_b64 exec, exec, s[26:27]
	v_add_u32_e32 v42, v2, v51
	v_mov_b32_e32 v2, 0
	v_mov_b32_e32 v12, 0
	s_and_saveexec_b64 s[26:27], s[50:51]
	s_cbranch_execz .LBB40_59
; %bb.58:                               ;   in Loop: Header=BB40_43 Depth=1
	v_add3_u32 v12, v34, s61, v49
	v_lshlrev_b64 v[50:51], 2, v[12:13]
	v_mov_b32_e32 v12, s55
	v_add_co_u32_e64 v50, s[24:25], s54, v50
	v_addc_co_u32_e64 v51, s[24:25], v12, v51, s[24:25]
	global_load_dword v12, v[50:51], off
	v_add_u32_e32 v50, v42, v6
	v_ashrrev_i32_e32 v51, 31, v50
	v_add3_u32 v49, v8, s34, 4
	v_lshlrev_b64 v[50:51], 2, v[50:51]
	v_mov_b32_e32 v53, s47
	v_and_b32_e32 v49, 0xfffff4, v49
	v_add_co_u32_e64 v52, s[24:25], s46, v50
	v_lshl_or_b32 v49, v3, 24, v49
	v_addc_co_u32_e64 v53, s[24:25], v53, v51, s[24:25]
	v_mov_b32_e32 v54, s49
	v_add_u32_e32 v49, 0xff000000, v49
	v_add_co_u32_e64 v50, s[24:25], s48, v50
	v_addc_co_u32_e64 v51, s[24:25], v54, v51, s[24:25]
	global_store_dword v[52:53], v49, off
	s_waitcnt vmcnt(1)
	global_store_dword v[50:51], v12, off
	v_mov_b32_e32 v12, 1
.LBB40_59:                              ;   in Loop: Header=BB40_43 Depth=1
	s_or_b64 exec, exec, s[26:27]
	v_add_u32_e32 v42, v12, v42
	s_and_saveexec_b64 s[24:25], s[22:23]
	s_cbranch_execz .LBB40_61
; %bb.60:                               ;   in Loop: Header=BB40_43 Depth=1
	v_add3_u32 v12, v32, s61, v48
	v_lshlrev_b64 v[48:49], 2, v[12:13]
	v_mov_b32_e32 v2, s55
	v_add_co_u32_e64 v48, s[22:23], s54, v48
	v_addc_co_u32_e64 v49, s[22:23], v2, v49, s[22:23]
	global_load_dword v2, v[48:49], off
	v_add_u32_e32 v48, v42, v6
	v_ashrrev_i32_e32 v49, 31, v48
	v_add3_u32 v12, v8, s34, 5
	v_lshlrev_b64 v[48:49], 2, v[48:49]
	v_mov_b32_e32 v51, s47
	v_and_b32_e32 v12, 0xfffff5, v12
	v_add_co_u32_e64 v50, s[22:23], s46, v48
	v_lshl_or_b32 v12, v47, 24, v12
	v_addc_co_u32_e64 v51, s[22:23], v51, v49, s[22:23]
	v_mov_b32_e32 v52, s49
	v_add_u32_e32 v12, 0xff000000, v12
	v_add_co_u32_e64 v48, s[22:23], s48, v48
	v_addc_co_u32_e64 v49, s[22:23], v52, v49, s[22:23]
	global_store_dword v[50:51], v12, off
	s_waitcnt vmcnt(1)
	global_store_dword v[48:49], v2, off
	v_mov_b32_e32 v2, 1
.LBB40_61:                              ;   in Loop: Header=BB40_43 Depth=1
	s_or_b64 exec, exec, s[24:25]
	v_add_u32_e32 v42, v2, v42
	v_mov_b32_e32 v2, 0
	v_mov_b32_e32 v12, 0
	s_and_saveexec_b64 s[24:25], s[44:45]
	s_cbranch_execz .LBB40_63
; %bb.62:                               ;   in Loop: Header=BB40_43 Depth=1
	v_add3_u32 v12, v30, s61, v43
	v_lshlrev_b64 v[48:49], 2, v[12:13]
	v_mov_b32_e32 v12, s55
	v_add_co_u32_e64 v48, s[22:23], s54, v48
	v_addc_co_u32_e64 v49, s[22:23], v12, v49, s[22:23]
	global_load_dword v12, v[48:49], off
	v_add3_u32 v43, v8, s34, 6
	v_add_u32_e32 v48, v42, v6
	v_and_b32_e32 v43, 0xfffff6, v43
	v_ashrrev_i32_e32 v49, 31, v48
	v_lshl_or_b32 v43, v46, 24, v43
	v_lshlrev_b64 v[46:47], 2, v[48:49]
	v_mov_b32_e32 v50, s47
	v_add_co_u32_e64 v48, s[22:23], s46, v46
	v_addc_co_u32_e64 v49, s[22:23], v50, v47, s[22:23]
	v_mov_b32_e32 v51, s49
	v_add_u32_e32 v43, 0xff000000, v43
	v_add_co_u32_e64 v46, s[22:23], s48, v46
	v_addc_co_u32_e64 v47, s[22:23], v51, v47, s[22:23]
	global_store_dword v[48:49], v43, off
	s_waitcnt vmcnt(1)
	global_store_dword v[46:47], v12, off
	v_mov_b32_e32 v12, 1
.LBB40_63:                              ;   in Loop: Header=BB40_43 Depth=1
	s_or_b64 exec, exec, s[24:25]
	v_add_u32_e32 v42, v12, v42
	s_and_saveexec_b64 s[22:23], s[20:21]
	s_cbranch_execz .LBB40_65
; %bb.64:                               ;   in Loop: Header=BB40_43 Depth=1
	v_and_b32_sdwa v43, s63, v3 dst_sel:DWORD dst_unused:UNUSED_PAD src0_sel:DWORD src1_sel:BYTE_3
	v_add3_u32 v12, v28, s61, v43
	v_lshlrev_b64 v[2:3], 2, v[12:13]
	v_mov_b32_e32 v12, s55
	v_add_co_u32_e64 v2, s[20:21], s54, v2
	v_addc_co_u32_e64 v3, s[20:21], v12, v3, s[20:21]
	global_load_dword v12, v[2:3], off
	v_add3_u32 v3, v8, s34, 7
	v_add_u32_e32 v2, v42, v6
	v_and_b32_e32 v46, 0xfffff7, v3
	v_ashrrev_i32_e32 v3, 31, v2
	v_lshlrev_b64 v[2:3], 2, v[2:3]
	v_mov_b32_e32 v47, s47
	v_lshl_or_b32 v43, v43, 24, v46
	v_add_co_u32_e64 v46, s[20:21], s46, v2
	v_addc_co_u32_e64 v47, s[20:21], v47, v3, s[20:21]
	v_mov_b32_e32 v48, s49
	v_add_u32_e32 v43, 0xff000000, v43
	v_add_co_u32_e64 v2, s[20:21], s48, v2
	v_addc_co_u32_e64 v3, s[20:21], v48, v3, s[20:21]
	global_store_dword v[46:47], v43, off
	s_waitcnt vmcnt(1)
	global_store_dword v[2:3], v12, off
	v_mov_b32_e32 v2, 1
.LBB40_65:                              ;   in Loop: Header=BB40_43 Depth=1
	s_or_b64 exec, exec, s[22:23]
	v_add_u32_e32 v3, v2, v42
	v_mov_b32_e32 v2, 0
	v_mov_b32_e32 v12, 0
	s_and_saveexec_b64 s[22:23], s[42:43]
	s_cbranch_execz .LBB40_67
; %bb.66:                               ;   in Loop: Header=BB40_43 Depth=1
	v_add3_u32 v12, v26, s61, v41
	v_lshlrev_b64 v[42:43], 2, v[12:13]
	v_mov_b32_e32 v12, s55
	v_add_co_u32_e64 v42, s[20:21], s54, v42
	v_addc_co_u32_e64 v43, s[20:21], v12, v43, s[20:21]
	global_load_dword v12, v[42:43], off
	v_add_u32_e32 v42, v3, v6
	v_ashrrev_i32_e32 v43, 31, v42
	v_add3_u32 v41, v8, s34, 8
	v_lshlrev_b64 v[42:43], 2, v[42:43]
	v_mov_b32_e32 v47, s47
	v_and_b32_e32 v41, 0xfffff8, v41
	v_add_co_u32_e64 v46, s[20:21], s46, v42
	v_lshl_or_b32 v4, v4, 24, v41
	v_addc_co_u32_e64 v47, s[20:21], v47, v43, s[20:21]
	v_mov_b32_e32 v48, s49
	v_add_u32_e32 v4, 0xff000000, v4
	v_add_co_u32_e64 v42, s[20:21], s48, v42
	v_addc_co_u32_e64 v43, s[20:21], v48, v43, s[20:21]
	global_store_dword v[46:47], v4, off
	s_waitcnt vmcnt(1)
	global_store_dword v[42:43], v12, off
	v_mov_b32_e32 v12, 1
.LBB40_67:                              ;   in Loop: Header=BB40_43 Depth=1
	s_or_b64 exec, exec, s[22:23]
	v_add_u32_e32 v3, v12, v3
	s_and_saveexec_b64 s[20:21], s[18:19]
	s_cbranch_execz .LBB40_69
; %bb.68:                               ;   in Loop: Header=BB40_43 Depth=1
	v_add3_u32 v12, v24, s61, v39
	v_lshlrev_b64 v[42:43], 2, v[12:13]
	v_mov_b32_e32 v2, s55
	v_add_co_u32_e64 v42, s[18:19], s54, v42
	v_addc_co_u32_e64 v43, s[18:19], v2, v43, s[18:19]
	global_load_dword v2, v[42:43], off
	v_add_u32_e32 v42, v3, v6
	v_ashrrev_i32_e32 v43, 31, v42
	v_add3_u32 v4, v8, s34, 9
	v_lshlrev_b64 v[42:43], 2, v[42:43]
	v_mov_b32_e32 v12, s47
	v_and_b32_e32 v4, 0xfffff9, v4
	v_add_co_u32_e64 v46, s[18:19], s46, v42
	v_lshl_or_b32 v4, v37, 24, v4
	v_addc_co_u32_e64 v47, s[18:19], v12, v43, s[18:19]
	v_mov_b32_e32 v39, s49
	v_add_u32_e32 v4, 0xff000000, v4
	v_add_co_u32_e64 v42, s[18:19], s48, v42
	v_addc_co_u32_e64 v43, s[18:19], v39, v43, s[18:19]
	global_store_dword v[46:47], v4, off
	s_waitcnt vmcnt(1)
	global_store_dword v[42:43], v2, off
	v_mov_b32_e32 v2, 1
.LBB40_69:                              ;   in Loop: Header=BB40_43 Depth=1
	s_or_b64 exec, exec, s[20:21]
	v_add_u32_e32 v3, v2, v3
	v_mov_b32_e32 v2, 0
	v_mov_b32_e32 v4, 0
	s_and_saveexec_b64 s[20:21], s[40:41]
	s_cbranch_execz .LBB40_71
; %bb.70:                               ;   in Loop: Header=BB40_43 Depth=1
	v_add3_u32 v12, v22, s61, v35
	v_lshlrev_b64 v[42:43], 2, v[12:13]
	v_mov_b32_e32 v4, s55
	v_add_co_u32_e64 v42, s[18:19], s54, v42
	v_addc_co_u32_e64 v43, s[18:19], v4, v43, s[18:19]
	global_load_dword v4, v[42:43], off
	v_add_u32_e32 v42, v3, v6
	v_ashrrev_i32_e32 v43, 31, v42
	v_add3_u32 v12, v8, s34, 10
	v_lshlrev_b64 v[42:43], 2, v[42:43]
	v_mov_b32_e32 v35, s47
	v_and_b32_e32 v12, 0xfffffa, v12
	v_add_co_u32_e64 v46, s[18:19], s46, v42
	v_lshl_or_b32 v12, v33, 24, v12
	v_addc_co_u32_e64 v47, s[18:19], v35, v43, s[18:19]
	v_mov_b32_e32 v37, s49
	v_add_u32_e32 v12, 0xff000000, v12
	v_add_co_u32_e64 v42, s[18:19], s48, v42
	v_addc_co_u32_e64 v43, s[18:19], v37, v43, s[18:19]
	global_store_dword v[46:47], v12, off
	s_waitcnt vmcnt(1)
	global_store_dword v[42:43], v4, off
	v_mov_b32_e32 v4, 1
.LBB40_71:                              ;   in Loop: Header=BB40_43 Depth=1
	s_or_b64 exec, exec, s[20:21]
	v_add_u32_e32 v3, v4, v3
	s_and_saveexec_b64 s[18:19], s[16:17]
	s_cbranch_execz .LBB40_73
; %bb.72:                               ;   in Loop: Header=BB40_43 Depth=1
	v_add3_u32 v12, v20, s61, v31
	v_lshlrev_b64 v[42:43], 2, v[12:13]
	v_mov_b32_e32 v2, s55
	v_add_co_u32_e64 v42, s[16:17], s54, v42
	v_addc_co_u32_e64 v43, s[16:17], v2, v43, s[16:17]
	global_load_dword v2, v[42:43], off
	v_add3_u32 v4, v8, s34, 11
	v_add_u32_e32 v42, v3, v6
	v_and_b32_e32 v4, 0xfffffb, v4
	v_ashrrev_i32_e32 v43, 31, v42
	v_lshl_or_b32 v4, v40, 24, v4
	v_lshlrev_b64 v[40:41], 2, v[42:43]
	v_mov_b32_e32 v12, s47
	v_add_co_u32_e64 v42, s[16:17], s46, v40
	v_addc_co_u32_e64 v43, s[16:17], v12, v41, s[16:17]
	v_mov_b32_e32 v31, s49
	v_add_u32_e32 v4, 0xff000000, v4
	v_add_co_u32_e64 v40, s[16:17], s48, v40
	v_addc_co_u32_e64 v41, s[16:17], v31, v41, s[16:17]
	global_store_dword v[42:43], v4, off
	s_waitcnt vmcnt(1)
	global_store_dword v[40:41], v2, off
	v_mov_b32_e32 v2, 1
.LBB40_73:                              ;   in Loop: Header=BB40_43 Depth=1
	s_or_b64 exec, exec, s[18:19]
	v_add_u32_e32 v3, v2, v3
	v_mov_b32_e32 v2, 0
	v_mov_b32_e32 v4, 0
	s_and_saveexec_b64 s[18:19], s[38:39]
	s_cbranch_execz .LBB40_75
; %bb.74:                               ;   in Loop: Header=BB40_43 Depth=1
	v_add3_u32 v12, v18, s61, v29
	v_lshlrev_b64 v[40:41], 2, v[12:13]
	v_mov_b32_e32 v4, s55
	v_add_co_u32_e64 v40, s[16:17], s54, v40
	v_addc_co_u32_e64 v41, s[16:17], v4, v41, s[16:17]
	global_load_dword v4, v[40:41], off
	v_add_u32_e32 v40, v3, v6
	v_ashrrev_i32_e32 v41, 31, v40
	v_add3_u32 v12, v8, s34, 12
	v_lshlrev_b64 v[40:41], 2, v[40:41]
	v_mov_b32_e32 v29, s47
	v_and_b32_e32 v12, 0xfffffc, v12
	v_add_co_u32_e64 v42, s[16:17], s46, v40
	v_lshl_or_b32 v12, v5, 24, v12
	v_addc_co_u32_e64 v43, s[16:17], v29, v41, s[16:17]
	v_mov_b32_e32 v31, s49
	v_add_u32_e32 v12, 0xff000000, v12
	v_add_co_u32_e64 v40, s[16:17], s48, v40
	v_addc_co_u32_e64 v41, s[16:17], v31, v41, s[16:17]
	global_store_dword v[42:43], v12, off
	s_waitcnt vmcnt(1)
	global_store_dword v[40:41], v4, off
	v_mov_b32_e32 v4, 1
.LBB40_75:                              ;   in Loop: Header=BB40_43 Depth=1
	s_or_b64 exec, exec, s[18:19]
	v_add_u32_e32 v3, v4, v3
	s_and_saveexec_b64 s[16:17], s[14:15]
	s_cbranch_execz .LBB40_77
; %bb.76:                               ;   in Loop: Header=BB40_43 Depth=1
	v_add3_u32 v12, v16, s61, v27
	v_lshlrev_b64 v[40:41], 2, v[12:13]
	v_mov_b32_e32 v2, s55
	v_add_co_u32_e64 v40, s[14:15], s54, v40
	v_addc_co_u32_e64 v41, s[14:15], v2, v41, s[14:15]
	global_load_dword v2, v[40:41], off
	v_add_u32_e32 v40, v3, v6
	v_ashrrev_i32_e32 v41, 31, v40
	v_add3_u32 v4, v8, s34, 13
	v_lshlrev_b64 v[40:41], 2, v[40:41]
	v_mov_b32_e32 v12, s47
	v_and_b32_e32 v4, 0xfffffd, v4
	v_add_co_u32_e64 v42, s[14:15], s46, v40
	v_lshl_or_b32 v4, v23, 24, v4
	v_addc_co_u32_e64 v43, s[14:15], v12, v41, s[14:15]
	v_mov_b32_e32 v27, s49
	v_add_u32_e32 v4, 0xff000000, v4
	v_add_co_u32_e64 v40, s[14:15], s48, v40
	v_addc_co_u32_e64 v41, s[14:15], v27, v41, s[14:15]
	global_store_dword v[42:43], v4, off
	s_waitcnt vmcnt(1)
	global_store_dword v[40:41], v2, off
	v_mov_b32_e32 v2, 1
.LBB40_77:                              ;   in Loop: Header=BB40_43 Depth=1
	s_or_b64 exec, exec, s[16:17]
	v_add_u32_e32 v2, v2, v3
	v_mov_b32_e32 v3, 0
	s_and_saveexec_b64 s[16:17], s[36:37]
	s_cbranch_execz .LBB40_79
; %bb.78:                               ;   in Loop: Header=BB40_43 Depth=1
	v_add3_u32 v12, v14, s61, v25
	v_lshlrev_b64 v[40:41], 2, v[12:13]
	v_mov_b32_e32 v3, s55
	v_add_co_u32_e64 v40, s[14:15], s54, v40
	v_addc_co_u32_e64 v41, s[14:15], v3, v41, s[14:15]
	global_load_dword v3, v[40:41], off
	v_add_u32_e32 v40, v2, v6
	v_ashrrev_i32_e32 v41, 31, v40
	v_add3_u32 v4, v8, s34, 14
	v_lshlrev_b64 v[40:41], 2, v[40:41]
	v_mov_b32_e32 v12, s47
	v_and_b32_e32 v4, 0xfffffe, v4
	v_add_co_u32_e64 v42, s[14:15], s46, v40
	v_lshl_or_b32 v4, v21, 24, v4
	v_addc_co_u32_e64 v43, s[14:15], v12, v41, s[14:15]
	v_mov_b32_e32 v23, s49
	v_add_u32_e32 v4, 0xff000000, v4
	v_add_co_u32_e64 v40, s[14:15], s48, v40
	v_addc_co_u32_e64 v41, s[14:15], v23, v41, s[14:15]
	global_store_dword v[42:43], v4, off
	s_waitcnt vmcnt(1)
	global_store_dword v[40:41], v3, off
	v_mov_b32_e32 v3, 1
.LBB40_79:                              ;   in Loop: Header=BB40_43 Depth=1
	s_or_b64 exec, exec, s[16:17]
	s_and_saveexec_b64 s[14:15], s[12:13]
	s_cbranch_execz .LBB40_42
; %bb.80:                               ;   in Loop: Header=BB40_43 Depth=1
	v_and_b32_sdwa v21, s63, v5 dst_sel:DWORD dst_unused:UNUSED_PAD src0_sel:DWORD src1_sel:BYTE_3
	v_add3_u32 v12, v10, s61, v21
	v_lshlrev_b64 v[4:5], 2, v[12:13]
	v_mov_b32_e32 v12, s55
	v_add_co_u32_e64 v4, s[12:13], s54, v4
	v_addc_co_u32_e64 v5, s[12:13], v12, v5, s[12:13]
	global_load_dword v12, v[4:5], off
	v_add3_u32 v2, v2, v6, v3
	v_ashrrev_i32_e32 v3, 31, v2
	v_add_u32_e32 v4, -1, v21
	v_add3_u32 v5, v8, s34, 15
	v_lshlrev_b64 v[2:3], 2, v[2:3]
	v_perm_b32 v21, v4, v5, s64
	v_mov_b32_e32 v5, s47
	v_add_co_u32_e64 v4, s[12:13], s46, v2
	v_addc_co_u32_e64 v5, s[12:13], v5, v3, s[12:13]
	global_store_dword v[4:5], v21, off
	v_mov_b32_e32 v4, s49
	v_add_co_u32_e64 v2, s[12:13], s48, v2
	v_addc_co_u32_e64 v3, s[12:13], v4, v3, s[12:13]
	s_waitcnt vmcnt(1)
	global_store_dword v[2:3], v12, off
	s_branch .LBB40_42
.LBB40_81:
	v_mov_b32_e32 v19, 0
.LBB40_82:
	s_waitcnt lgkmcnt(0)
	v_add_u32_e32 v1, v19, v6
	v_add_u32_e32 v2, v1, v0
	v_cmp_lt_i32_e32 vcc, v2, v7
	s_and_saveexec_b64 s[0:1], vcc
	s_cbranch_execz .LBB40_90
; %bb.83:
	v_add_u32_e32 v3, 0x100, v2
	v_max_i32_e32 v4, v7, v3
	s_and_b32 s0, s33, 0xffffff
	s_lshl_b32 s1, s31, 24
	v_xad_u32 v0, v0, -1, v4
	s_or_b32 s6, s0, s1
	v_sub_u32_e32 v0, v0, v1
	s_movk_i32 s0, 0xff
	v_cmp_lt_u32_e32 vcc, s0, v0
	s_mov_b64 s[0:1], -1
	s_and_saveexec_b64 s[2:3], vcc
	s_cbranch_execz .LBB40_87
; %bb.84:
	v_lshrrev_b32_e32 v0, 8, v0
	v_add_u32_e32 v4, 1, v0
	v_and_b32_e32 v5, 0x1fffffe, v4
	s_mov_b64 s[4:5], 0
	v_mov_b32_e32 v6, s47
	v_mov_b32_e32 v8, s6
	v_mov_b32_e32 v9, s49
	v_mov_b32_e32 v10, 0
	v_mov_b32_e32 v11, v5
	v_pk_mov_b32 v[0:1], v[2:3], v[2:3] op_sel:[0,1]
.LBB40_85:                              ; =>This Inner Loop Header: Depth=1
	v_ashrrev_i32_e32 v15, 31, v0
	v_mov_b32_e32 v14, v0
	v_lshlrev_b64 v[14:15], 2, v[14:15]
	v_ashrrev_i32_e32 v13, 31, v1
	v_mov_b32_e32 v12, v1
	v_add_co_u32_e64 v16, s[0:1], s46, v14
	v_lshlrev_b64 v[12:13], 2, v[12:13]
	v_addc_co_u32_e64 v17, s[0:1], v6, v15, s[0:1]
	v_add_co_u32_e64 v18, s[0:1], s46, v12
	v_addc_co_u32_e64 v19, s[0:1], v6, v13, s[0:1]
	v_add_u32_e32 v11, -2, v11
	v_add_co_u32_e64 v14, s[0:1], s48, v14
	v_cmp_eq_u32_e32 vcc, 0, v11
	v_addc_co_u32_e64 v15, s[0:1], v9, v15, s[0:1]
	v_add_u32_e32 v1, 0x200, v1
	v_add_u32_e32 v0, 0x200, v0
	v_add_co_u32_e64 v12, s[0:1], s48, v12
	s_or_b64 s[4:5], vcc, s[4:5]
	v_addc_co_u32_e64 v13, s[0:1], v9, v13, s[0:1]
	global_store_dword v[16:17], v8, off
	global_store_dword v[18:19], v8, off
	;; [unrolled: 1-line block ×4, first 2 shown]
	s_andn2_b64 exec, exec, s[4:5]
	s_cbranch_execnz .LBB40_85
; %bb.86:
	s_or_b64 exec, exec, s[4:5]
	v_cmp_ne_u32_e32 vcc, v4, v5
	v_lshl_add_u32 v2, v5, 8, v2
	s_orn2_b64 s[0:1], vcc, exec
.LBB40_87:
	s_or_b64 exec, exec, s[2:3]
	s_and_b64 exec, exec, s[0:1]
	s_cbranch_execz .LBB40_90
; %bb.88:
	v_ashrrev_i32_e32 v3, 31, v2
	v_lshlrev_b64 v[4:5], 2, v[2:3]
	v_mov_b32_e32 v1, s47
	v_add_co_u32_e32 v0, vcc, s46, v4
	v_addc_co_u32_e32 v1, vcc, v1, v5, vcc
	v_mov_b32_e32 v3, s49
	v_add_co_u32_e32 v4, vcc, s48, v4
	v_addc_co_u32_e32 v5, vcc, v3, v5, vcc
	s_mov_b64 s[2:3], 0
	v_mov_b32_e32 v3, s6
	v_mov_b32_e32 v6, 0
.LBB40_89:                              ; =>This Inner Loop Header: Depth=1
	global_store_dword v[0:1], v3, off
	global_store_dword v[4:5], v6, off
	v_add_co_u32_e32 v0, vcc, 0x400, v0
	v_add_u32_e32 v2, 0x100, v2
	v_addc_co_u32_e32 v1, vcc, 0, v1, vcc
	v_add_co_u32_e32 v4, vcc, 0x400, v4
	v_cmp_ge_i32_e64 s[0:1], v2, v7
	s_or_b64 s[2:3], s[0:1], s[2:3]
	v_addc_co_u32_e32 v5, vcc, 0, v5, vcc
	s_andn2_b64 exec, exec, s[2:3]
	s_cbranch_execnz .LBB40_89
.LBB40_90:
	s_endpgm
	.section	.rodata,"a",@progbits
	.p2align	6, 0x0
	.amdhsa_kernel _ZN5aiter22opus_moe_sorting_entryINS_30MoeSortingMultiPhaseKernel_P23INS_19MoeSortingProblemMpIifhLi16ELb0ELb1ELb1EEEEENS4_5KargsEEEvT0_
		.amdhsa_group_segment_fixed_size 0
		.amdhsa_private_segment_fixed_size 0
		.amdhsa_kernarg_size 400
		.amdhsa_user_sgpr_count 6
		.amdhsa_user_sgpr_private_segment_buffer 1
		.amdhsa_user_sgpr_dispatch_ptr 0
		.amdhsa_user_sgpr_queue_ptr 0
		.amdhsa_user_sgpr_kernarg_segment_ptr 1
		.amdhsa_user_sgpr_dispatch_id 0
		.amdhsa_user_sgpr_flat_scratch_init 0
		.amdhsa_user_sgpr_kernarg_preload_length 0
		.amdhsa_user_sgpr_kernarg_preload_offset 0
		.amdhsa_user_sgpr_private_segment_size 0
		.amdhsa_uses_dynamic_stack 0
		.amdhsa_system_sgpr_private_segment_wavefront_offset 0
		.amdhsa_system_sgpr_workgroup_id_x 1
		.amdhsa_system_sgpr_workgroup_id_y 0
		.amdhsa_system_sgpr_workgroup_id_z 0
		.amdhsa_system_sgpr_workgroup_info 0
		.amdhsa_system_vgpr_workitem_id 0
		.amdhsa_next_free_vgpr 63
		.amdhsa_next_free_sgpr 65
		.amdhsa_accum_offset 64
		.amdhsa_reserve_vcc 1
		.amdhsa_reserve_flat_scratch 0
		.amdhsa_float_round_mode_32 0
		.amdhsa_float_round_mode_16_64 0
		.amdhsa_float_denorm_mode_32 3
		.amdhsa_float_denorm_mode_16_64 3
		.amdhsa_dx10_clamp 1
		.amdhsa_ieee_mode 1
		.amdhsa_fp16_overflow 0
		.amdhsa_tg_split 0
		.amdhsa_exception_fp_ieee_invalid_op 0
		.amdhsa_exception_fp_denorm_src 0
		.amdhsa_exception_fp_ieee_div_zero 0
		.amdhsa_exception_fp_ieee_overflow 0
		.amdhsa_exception_fp_ieee_underflow 0
		.amdhsa_exception_fp_ieee_inexact 0
		.amdhsa_exception_int_div_zero 0
	.end_amdhsa_kernel
	.section	.text._ZN5aiter22opus_moe_sorting_entryINS_30MoeSortingMultiPhaseKernel_P23INS_19MoeSortingProblemMpIifhLi16ELb0ELb1ELb1EEEEENS4_5KargsEEEvT0_,"axG",@progbits,_ZN5aiter22opus_moe_sorting_entryINS_30MoeSortingMultiPhaseKernel_P23INS_19MoeSortingProblemMpIifhLi16ELb0ELb1ELb1EEEEENS4_5KargsEEEvT0_,comdat
.Lfunc_end40:
	.size	_ZN5aiter22opus_moe_sorting_entryINS_30MoeSortingMultiPhaseKernel_P23INS_19MoeSortingProblemMpIifhLi16ELb0ELb1ELb1EEEEENS4_5KargsEEEvT0_, .Lfunc_end40-_ZN5aiter22opus_moe_sorting_entryINS_30MoeSortingMultiPhaseKernel_P23INS_19MoeSortingProblemMpIifhLi16ELb0ELb1ELb1EEEEENS4_5KargsEEEvT0_
                                        ; -- End function
	.section	.AMDGPU.csdata,"",@progbits
; Kernel info:
; codeLenInByte = 6076
; NumSgprs: 69
; NumVgprs: 63
; NumAgprs: 0
; TotalNumVgprs: 63
; ScratchSize: 0
; MemoryBound: 0
; FloatMode: 240
; IeeeMode: 1
; LDSByteSize: 0 bytes/workgroup (compile time only)
; SGPRBlocks: 8
; VGPRBlocks: 7
; NumSGPRsForWavesPerEU: 69
; NumVGPRsForWavesPerEU: 63
; AccumOffset: 64
; Occupancy: 8
; WaveLimiterHint : 1
; COMPUTE_PGM_RSRC2:SCRATCH_EN: 0
; COMPUTE_PGM_RSRC2:USER_SGPR: 6
; COMPUTE_PGM_RSRC2:TRAP_HANDLER: 0
; COMPUTE_PGM_RSRC2:TGID_X_EN: 1
; COMPUTE_PGM_RSRC2:TGID_Y_EN: 0
; COMPUTE_PGM_RSRC2:TGID_Z_EN: 0
; COMPUTE_PGM_RSRC2:TIDIG_COMP_CNT: 0
; COMPUTE_PGM_RSRC3_GFX90A:ACCUM_OFFSET: 15
; COMPUTE_PGM_RSRC3_GFX90A:TG_SPLIT: 0
	.section	.text._ZN5aiter22opus_moe_sorting_entryINS_32MoeSortingMultiPhaseKernel_P0_v2INS_19MoeSortingProblemMpIifhLi4ELb0ELb0ELb1EEEEENS4_5KargsEEEvT0_,"axG",@progbits,_ZN5aiter22opus_moe_sorting_entryINS_32MoeSortingMultiPhaseKernel_P0_v2INS_19MoeSortingProblemMpIifhLi4ELb0ELb0ELb1EEEEENS4_5KargsEEEvT0_,comdat
	.protected	_ZN5aiter22opus_moe_sorting_entryINS_32MoeSortingMultiPhaseKernel_P0_v2INS_19MoeSortingProblemMpIifhLi4ELb0ELb0ELb1EEEEENS4_5KargsEEEvT0_ ; -- Begin function _ZN5aiter22opus_moe_sorting_entryINS_32MoeSortingMultiPhaseKernel_P0_v2INS_19MoeSortingProblemMpIifhLi4ELb0ELb0ELb1EEEEENS4_5KargsEEEvT0_
	.globl	_ZN5aiter22opus_moe_sorting_entryINS_32MoeSortingMultiPhaseKernel_P0_v2INS_19MoeSortingProblemMpIifhLi4ELb0ELb0ELb1EEEEENS4_5KargsEEEvT0_
	.p2align	8
	.type	_ZN5aiter22opus_moe_sorting_entryINS_32MoeSortingMultiPhaseKernel_P0_v2INS_19MoeSortingProblemMpIifhLi4ELb0ELb0ELb1EEEEENS4_5KargsEEEvT0_,@function
_ZN5aiter22opus_moe_sorting_entryINS_32MoeSortingMultiPhaseKernel_P0_v2INS_19MoeSortingProblemMpIifhLi4ELb0ELb0ELb1EEEEENS4_5KargsEEEvT0_: ; @_ZN5aiter22opus_moe_sorting_entryINS_32MoeSortingMultiPhaseKernel_P0_v2INS_19MoeSortingProblemMpIifhLi4ELb0ELb0ELb1EEEEENS4_5KargsEEEvT0_
; %bb.0:
	s_load_dwordx4 s[8:11], s[4:5], 0x18
	s_load_dwordx2 s[2:3], s[4:5], 0x10
	s_load_dword s27, s[4:5], 0x28
	s_waitcnt lgkmcnt(0)
	s_mul_i32 s7, s9, s6
	s_ashr_i32 s26, s7, 31
	s_add_u32 s12, s2, s7
	s_addc_u32 s13, s3, s26
	v_cmp_gt_i32_e32 vcc, s9, v0
	s_and_saveexec_b64 s[14:15], vcc
	s_cbranch_execz .LBB41_8
; %bb.1:
	v_xad_u32 v1, v0, -1, s9
	s_movk_i32 s0, 0xdff
	v_cmp_lt_u32_e32 vcc, s0, v1
	s_mov_b64 s[16:17], -1
	v_mov_b32_e32 v2, v0
	s_and_saveexec_b64 s[0:1], vcc
	s_cbranch_execz .LBB41_5
; %bb.2:
	v_lshrrev_b32_e32 v1, 9, v1
	v_add_u32_e32 v10, 1, v1
	v_add_u32_e32 v7, 0xe00, v0
	v_or_b32_e32 v6, 0xc00, v0
	v_add_u32_e32 v5, 0xa00, v0
	v_or_b32_e32 v4, 0x800, v0
	;; [unrolled: 2-line block ×3, first 2 shown]
	v_and_b32_e32 v11, 0xfffff8, v10
	v_add_u32_e32 v1, 0x200, v0
	v_pk_mov_b32 v[8:9], v[6:7], v[6:7] op_sel:[0,1]
	s_mov_b64 s[16:17], 0
	v_mov_b32_e32 v12, s13
	v_mov_b32_e32 v13, 0
	;; [unrolled: 1-line block ×3, first 2 shown]
	v_pk_mov_b32 v[6:7], v[4:5], v[4:5] op_sel:[0,1]
	v_pk_mov_b32 v[4:5], v[2:3], v[2:3] op_sel:[0,1]
	;; [unrolled: 1-line block ×3, first 2 shown]
.LBB41_3:                               ; =>This Inner Loop Header: Depth=1
	v_add_co_u32_e32 v16, vcc, s12, v2
	v_addc_co_u32_e32 v17, vcc, 0, v12, vcc
	v_add_co_u32_e32 v18, vcc, s12, v3
	v_addc_co_u32_e32 v19, vcc, 0, v12, vcc
	;; [unrolled: 2-line block ×8, first 2 shown]
	v_add_u32_e32 v14, -8, v14
	v_cmp_eq_u32_e32 vcc, 0, v14
	v_add_u32_e32 v9, 0x1000, v9
	v_add_u32_e32 v8, 0x1000, v8
	;; [unrolled: 1-line block ×8, first 2 shown]
	s_or_b64 s[16:17], vcc, s[16:17]
	global_store_byte v[16:17], v13, off
	global_store_byte v[18:19], v13, off
	global_store_byte v[20:21], v13, off
	global_store_byte v[22:23], v13, off
	global_store_byte v[24:25], v13, off
	global_store_byte v[26:27], v13, off
	global_store_byte v[28:29], v13, off
	global_store_byte v[30:31], v13, off
	s_andn2_b64 exec, exec, s[16:17]
	s_cbranch_execnz .LBB41_3
; %bb.4:
	s_or_b64 exec, exec, s[16:17]
	v_cmp_ne_u32_e32 vcc, v10, v11
	v_lshl_or_b32 v2, v11, 9, v0
	s_orn2_b64 s[16:17], vcc, exec
.LBB41_5:
	s_or_b64 exec, exec, s[0:1]
	s_and_b64 exec, exec, s[16:17]
	s_cbranch_execz .LBB41_8
; %bb.6:
	v_mov_b32_e32 v3, 0
	s_mov_b64 s[16:17], 0
	v_mov_b32_e32 v1, s13
	v_pk_mov_b32 v[4:5], v[2:3], v[2:3] op_sel:[0,1]
.LBB41_7:                               ; =>This Inner Loop Header: Depth=1
	v_add_co_u32_e32 v6, vcc, s12, v4
	v_addc_co_u32_e32 v7, vcc, v1, v5, vcc
	v_add_co_u32_e32 v4, vcc, 0x200, v4
	v_cmp_le_i32_e64 s[0:1], s9, v4
	s_or_b64 s[16:17], s[0:1], s[16:17]
	v_addc_co_u32_e32 v5, vcc, 0, v5, vcc
	global_store_byte v[6:7], v3, off
	s_andn2_b64 exec, exec, s[16:17]
	s_cbranch_execnz .LBB41_7
.LBB41_8:
	s_or_b64 exec, exec, s[14:15]
	s_load_dwordx2 s[14:15], s[4:5], 0x38
	s_mul_i32 s0, s10, s8
	s_lshr_b32 s8, s0, 2
	v_cmp_gt_u32_e32 vcc, s8, v0
	s_waitcnt lgkmcnt(0)
	s_barrier
	s_and_saveexec_b64 s[16:17], vcc
	s_cbranch_execz .LBB41_56
; %bb.9:
	s_load_dwordx2 s[18:19], s[4:5], 0x0
	v_xad_u32 v1, v0, -1, s8
	v_lshrrev_b32_e32 v2, 9, v1
	v_add_u32_e32 v2, 1, v2
	v_and_b32_e32 v2, 3, v2
	s_mov_b32 s5, 0
	s_mov_b32 s4, s11
	v_cmp_ne_u32_e32 vcc, 0, v2
	v_mov_b32_e32 v6, v0
	s_and_saveexec_b64 s[20:21], vcc
	s_cbranch_execz .LBB41_21
; %bb.10:
	v_lshlrev_b32_e32 v7, 2, v0
	v_or_b32_e32 v3, 3, v7
	v_mad_u64_u32 v[8:9], s[0:1], v3, s4, 0
	v_or_b32_e32 v3, 2, v7
	v_pk_mov_b32 v[4:5], s[4:5], s[4:5] op_sel:[0,1]
	v_mad_u64_u32 v[10:11], s[0:1], v3, s4, 0
	v_mad_u64_u32 v[12:13], s[0:1], s4, v7, v[4:5]
	;; [unrolled: 1-line block ×3, first 2 shown]
	v_lshlrev_b32_e32 v3, 4, v0
	s_lshl_b64 s[22:23], s[4:5], 11
	v_lshlrev_b64 v[14:15], 2, v[4:5]
	s_waitcnt lgkmcnt(0)
	v_mov_b32_e32 v4, s19
	v_add_co_u32_e32 v16, vcc, s18, v3
	s_sub_i32 s11, 0, s10
	v_addc_co_u32_e32 v17, vcc, 0, v4, vcc
	v_lshlrev_b32_e32 v18, 11, v2
	s_mov_b64 s[24:25], 0
	v_mov_b32_e32 v19, s23
	v_mov_b32_e32 v6, v0
	s_branch .LBB41_12
.LBB41_11:                              ;   in Loop: Header=BB41_12 Depth=1
	s_or_b64 exec, exec, s[0:1]
	v_add_co_u32_e32 v8, vcc, s22, v8
	v_addc_co_u32_e32 v9, vcc, v9, v19, vcc
	v_add_co_u32_e32 v10, vcc, s22, v10
	v_addc_co_u32_e32 v11, vcc, v11, v19, vcc
	;; [unrolled: 2-line block ×3, first 2 shown]
	v_add_co_u32_e32 v14, vcc, s22, v14
	s_addk_i32 s5, 0x800
	v_addc_co_u32_e32 v15, vcc, v15, v19, vcc
	v_add_co_u32_e32 v16, vcc, 0x2000, v16
	v_cmp_eq_u32_e64 s[0:1], s5, v18
	v_add_u32_e32 v6, 0x200, v6
	s_or_b64 s[24:25], s[0:1], s[24:25]
	v_addc_co_u32_e32 v17, vcc, 0, v17, vcc
	s_andn2_b64 exec, exec, s[24:25]
	s_cbranch_execz .LBB41_20
.LBB41_12:                              ; =>This Inner Loop Header: Depth=1
	global_load_dwordx4 v[2:5], v[16:17], off
	s_waitcnt vmcnt(0)
	v_cmp_eq_u32_e32 vcc, s6, v2
	v_add_u32_e32 v2, s5, v7
	s_and_saveexec_b64 s[0:1], vcc
	s_cbranch_execnz .LBB41_16
; %bb.13:                               ;   in Loop: Header=BB41_12 Depth=1
	s_or_b64 exec, exec, s[0:1]
	v_cmp_eq_u32_e32 vcc, s6, v3
	s_and_saveexec_b64 s[0:1], vcc
	s_cbranch_execnz .LBB41_17
.LBB41_14:                              ;   in Loop: Header=BB41_12 Depth=1
	s_or_b64 exec, exec, s[0:1]
	v_cmp_eq_u32_e32 vcc, s6, v4
	s_and_saveexec_b64 s[0:1], vcc
	s_cbranch_execnz .LBB41_18
.LBB41_15:                              ;   in Loop: Header=BB41_12 Depth=1
	s_or_b64 exec, exec, s[0:1]
	v_cmp_eq_u32_e32 vcc, s6, v5
	s_and_saveexec_b64 s[0:1], vcc
	s_cbranch_execz .LBB41_11
	s_branch .LBB41_19
.LBB41_16:                              ;   in Loop: Header=BB41_12 Depth=1
	v_add_u32_e32 v20, v2, v15
	v_lshrrev_b32_e32 v22, s27, v20
	v_mad_u64_u32 v[20:21], s[28:29], s11, v22, v[2:3]
	v_add_u16_e32 v20, 1, v20
	global_store_byte v22, v20, s[12:13]
	s_or_b64 exec, exec, s[0:1]
	v_cmp_eq_u32_e32 vcc, s6, v3
	s_and_saveexec_b64 s[0:1], vcc
	s_cbranch_execz .LBB41_14
.LBB41_17:                              ;   in Loop: Header=BB41_12 Depth=1
	v_add3_u32 v3, v13, v2, 1
	v_lshrrev_b32_e32 v3, s27, v3
	v_mad_u64_u32 v[20:21], s[28:29], s11, v3, v[2:3]
	v_add_u16_e32 v20, 2, v20
	global_store_byte v3, v20, s[12:13]
	s_or_b64 exec, exec, s[0:1]
	v_cmp_eq_u32_e32 vcc, s6, v4
	s_and_saveexec_b64 s[0:1], vcc
	s_cbranch_execz .LBB41_15
.LBB41_18:                              ;   in Loop: Header=BB41_12 Depth=1
	v_add3_u32 v3, v11, v2, 2
	v_lshrrev_b32_e32 v3, s27, v3
	v_mad_u64_u32 v[20:21], s[28:29], s11, v3, v[2:3]
	v_add_u16_e32 v4, 3, v20
	global_store_byte v3, v4, s[12:13]
	s_or_b64 exec, exec, s[0:1]
	v_cmp_eq_u32_e32 vcc, s6, v5
	s_and_saveexec_b64 s[0:1], vcc
	s_cbranch_execz .LBB41_11
.LBB41_19:                              ;   in Loop: Header=BB41_12 Depth=1
	v_add3_u32 v3, v9, v2, 3
	v_lshrrev_b32_e32 v4, s27, v3
	v_mad_u64_u32 v[2:3], s[28:29], s11, v4, v[2:3]
	v_add_u16_e32 v2, 4, v2
	global_store_byte v4, v2, s[12:13]
	s_branch .LBB41_11
.LBB41_20:
	s_or_b64 exec, exec, s[24:25]
.LBB41_21:
	s_or_b64 exec, exec, s[20:21]
	s_movk_i32 s0, 0x5ff
	v_cmp_lt_u32_e32 vcc, s0, v1
	s_and_b64 exec, exec, vcc
	s_cbranch_execz .LBB41_56
; %bb.22:
	v_mov_b32_e32 v7, 0
	v_lshlrev_b64 v[2:3], 4, v[6:7]
	v_lshlrev_b32_e32 v1, 2, v6
	s_waitcnt lgkmcnt(0)
	v_mov_b32_e32 v4, s19
	v_add_co_u32_e32 v10, vcc, s18, v2
	s_sub_i32 s5, 0, s10
	v_add_u32_e32 v8, 0x1803, v1
	v_add_u32_e32 v9, 0x1802, v1
	;; [unrolled: 1-line block ×4, first 2 shown]
	v_addc_co_u32_e32 v11, vcc, v4, v3, vcc
	v_add_u32_e32 v7, 0x1003, v1
	v_add_u32_e32 v14, 0x1002, v1
	;; [unrolled: 1-line block ×4, first 2 shown]
	v_or_b32_e32 v17, 1, v1
	v_or_b32_e32 v18, 2, v1
	;; [unrolled: 1-line block ×3, first 2 shown]
	v_add_u32_e32 v20, 0x803, v1
	v_add_u32_e32 v21, 0x802, v1
	;; [unrolled: 1-line block ×4, first 2 shown]
	s_mov_b64 s[0:1], 0
	s_movk_i32 s18, 0xe7fd
	s_movk_i32 s19, 0xe7fe
	;; [unrolled: 1-line block ×12, first 2 shown]
	s_branch .LBB41_24
.LBB41_23:                              ;   in Loop: Header=BB41_24 Depth=1
	s_or_b64 exec, exec, s[10:11]
	v_add_co_u32_e32 v10, vcc, 0x8000, v10
	v_add_u32_e32 v6, 0x800, v6
	v_addc_co_u32_e32 v11, vcc, 0, v11, vcc
	v_cmp_le_u32_e32 vcc, s8, v6
	v_add_u32_e32 v8, 0x2000, v8
	v_add_u32_e32 v9, 0x2000, v9
	;; [unrolled: 1-line block ×15, first 2 shown]
	s_or_b64 s[0:1], vcc, s[0:1]
	v_add_u32_e32 v23, 0x2000, v23
	s_andn2_b64 exec, exec, s[0:1]
	s_cbranch_execz .LBB41_56
.LBB41_24:                              ; =>This Inner Loop Header: Depth=1
	global_load_dwordx4 v[2:5], v[10:11], off
	s_waitcnt vmcnt(0)
	v_cmp_eq_u32_e32 vcc, s6, v2
	s_and_saveexec_b64 s[10:11], vcc
	s_cbranch_execnz .LBB41_43
; %bb.25:                               ;   in Loop: Header=BB41_24 Depth=1
	s_or_b64 exec, exec, s[10:11]
	v_cmp_eq_u32_e32 vcc, s6, v3
	s_and_saveexec_b64 s[10:11], vcc
	s_cbranch_execnz .LBB41_44
.LBB41_26:                              ;   in Loop: Header=BB41_24 Depth=1
	s_or_b64 exec, exec, s[10:11]
	v_cmp_eq_u32_e32 vcc, s6, v4
	s_and_saveexec_b64 s[10:11], vcc
	s_cbranch_execnz .LBB41_45
.LBB41_27:                              ;   in Loop: Header=BB41_24 Depth=1
	s_or_b64 exec, exec, s[10:11]
	v_cmp_eq_u32_e32 vcc, s6, v5
	s_and_saveexec_b64 s[10:11], vcc
	s_cbranch_execz .LBB41_29
.LBB41_28:                              ;   in Loop: Header=BB41_24 Depth=1
	v_mul_hi_u32 v2, s4, v19
	v_add3_u32 v2, v8, v2, s21
	v_lshrrev_b32_e32 v4, s27, v2
	v_mad_u64_u32 v[2:3], s[34:35], s5, v4, v[8:9]
	v_add_u16_e32 v2, 1, v2
	global_store_byte v4, v2, s[12:13]
.LBB41_29:                              ;   in Loop: Header=BB41_24 Depth=1
	s_or_b64 exec, exec, s[10:11]
	v_add_co_u32_e32 v2, vcc, 0x2000, v10
	v_addc_co_u32_e32 v3, vcc, 0, v11, vcc
	global_load_dwordx4 v[2:5], v[2:3], off
	s_waitcnt vmcnt(0)
	v_cmp_eq_u32_e32 vcc, s6, v2
	s_and_saveexec_b64 s[10:11], vcc
	s_cbranch_execnz .LBB41_46
; %bb.30:                               ;   in Loop: Header=BB41_24 Depth=1
	s_or_b64 exec, exec, s[10:11]
	v_cmp_eq_u32_e32 vcc, s6, v3
	s_and_saveexec_b64 s[10:11], vcc
	s_cbranch_execnz .LBB41_47
.LBB41_31:                              ;   in Loop: Header=BB41_24 Depth=1
	s_or_b64 exec, exec, s[10:11]
	v_cmp_eq_u32_e32 vcc, s6, v4
	s_and_saveexec_b64 s[10:11], vcc
	s_cbranch_execnz .LBB41_48
.LBB41_32:                              ;   in Loop: Header=BB41_24 Depth=1
	s_or_b64 exec, exec, s[10:11]
	v_cmp_eq_u32_e32 vcc, s6, v5
	s_and_saveexec_b64 s[10:11], vcc
	s_cbranch_execz .LBB41_34
.LBB41_33:                              ;   in Loop: Header=BB41_24 Depth=1
	v_mul_hi_u32 v2, s4, v20
	v_add3_u32 v2, v8, v2, s25
	v_lshrrev_b32_e32 v4, s27, v2
	v_mad_u64_u32 v[2:3], s[34:35], s5, v4, v[8:9]
	v_add_u16_e32 v2, 1, v2
	global_store_byte v4, v2, s[12:13]
.LBB41_34:                              ;   in Loop: Header=BB41_24 Depth=1
	s_or_b64 exec, exec, s[10:11]
	v_add_co_u32_e32 v2, vcc, 0x4000, v10
	v_addc_co_u32_e32 v3, vcc, 0, v11, vcc
	global_load_dwordx4 v[2:5], v[2:3], off
	s_waitcnt vmcnt(0)
	v_cmp_eq_u32_e32 vcc, s6, v2
	s_and_saveexec_b64 s[10:11], vcc
	s_cbranch_execnz .LBB41_49
; %bb.35:                               ;   in Loop: Header=BB41_24 Depth=1
	s_or_b64 exec, exec, s[10:11]
	v_cmp_eq_u32_e32 vcc, s6, v3
	s_and_saveexec_b64 s[10:11], vcc
	s_cbranch_execnz .LBB41_50
.LBB41_36:                              ;   in Loop: Header=BB41_24 Depth=1
	s_or_b64 exec, exec, s[10:11]
	v_cmp_eq_u32_e32 vcc, s6, v4
	s_and_saveexec_b64 s[10:11], vcc
	s_cbranch_execnz .LBB41_51
.LBB41_37:                              ;   in Loop: Header=BB41_24 Depth=1
	s_or_b64 exec, exec, s[10:11]
	v_cmp_eq_u32_e32 vcc, s6, v5
	s_and_saveexec_b64 s[10:11], vcc
	s_cbranch_execz .LBB41_39
.LBB41_38:                              ;   in Loop: Header=BB41_24 Depth=1
	v_mul_hi_u32 v2, s4, v7
	v_add3_u32 v2, v8, v2, s31
	v_lshrrev_b32_e32 v4, s27, v2
	v_mad_u64_u32 v[2:3], s[34:35], s5, v4, v[8:9]
	v_add_u16_e32 v2, 1, v2
	global_store_byte v4, v2, s[12:13]
.LBB41_39:                              ;   in Loop: Header=BB41_24 Depth=1
	s_or_b64 exec, exec, s[10:11]
	v_add_co_u32_e32 v2, vcc, 0x6000, v10
	v_addc_co_u32_e32 v3, vcc, 0, v11, vcc
	global_load_dwordx4 v[2:5], v[2:3], off
	s_waitcnt vmcnt(0)
	v_cmp_eq_u32_e32 vcc, s6, v2
	s_and_saveexec_b64 s[10:11], vcc
	s_cbranch_execnz .LBB41_52
; %bb.40:                               ;   in Loop: Header=BB41_24 Depth=1
	s_or_b64 exec, exec, s[10:11]
	v_cmp_eq_u32_e32 vcc, s6, v3
	s_and_saveexec_b64 s[10:11], vcc
	s_cbranch_execnz .LBB41_53
.LBB41_41:                              ;   in Loop: Header=BB41_24 Depth=1
	s_or_b64 exec, exec, s[10:11]
	v_cmp_eq_u32_e32 vcc, s6, v4
	s_and_saveexec_b64 s[10:11], vcc
	s_cbranch_execnz .LBB41_54
.LBB41_42:                              ;   in Loop: Header=BB41_24 Depth=1
	s_or_b64 exec, exec, s[10:11]
	v_cmp_eq_u32_e32 vcc, s6, v5
	s_and_saveexec_b64 s[10:11], vcc
	s_cbranch_execz .LBB41_23
	s_branch .LBB41_55
.LBB41_43:                              ;   in Loop: Header=BB41_24 Depth=1
	v_mul_hi_u32 v2, s4, v1
	v_add3_u32 v2, v8, v2, s18
	v_lshrrev_b32_e32 v2, s27, v2
	v_mad_u64_u32 v[24:25], s[34:35], s5, v2, v[8:9]
	v_add_u16_e32 v24, -2, v24
	global_store_byte v2, v24, s[12:13]
	s_or_b64 exec, exec, s[10:11]
	v_cmp_eq_u32_e32 vcc, s6, v3
	s_and_saveexec_b64 s[10:11], vcc
	s_cbranch_execz .LBB41_26
.LBB41_44:                              ;   in Loop: Header=BB41_24 Depth=1
	v_mul_hi_u32 v2, s4, v17
	v_add3_u32 v2, v8, v2, s19
	v_lshrrev_b32_e32 v24, s27, v2
	v_mad_u64_u32 v[2:3], s[34:35], s5, v24, v[8:9]
	v_add_u16_e32 v2, -1, v2
	global_store_byte v24, v2, s[12:13]
	s_or_b64 exec, exec, s[10:11]
	v_cmp_eq_u32_e32 vcc, s6, v4
	s_and_saveexec_b64 s[10:11], vcc
	s_cbranch_execz .LBB41_27
.LBB41_45:                              ;   in Loop: Header=BB41_24 Depth=1
	v_mul_hi_u32 v2, s4, v18
	v_add3_u32 v2, v8, v2, s20
	v_lshrrev_b32_e32 v4, s27, v2
	v_mad_u64_u32 v[2:3], s[34:35], s5, v4, v[8:9]
	global_store_byte v4, v2, s[12:13]
	s_or_b64 exec, exec, s[10:11]
	v_cmp_eq_u32_e32 vcc, s6, v5
	s_and_saveexec_b64 s[10:11], vcc
	s_cbranch_execnz .LBB41_28
	s_branch .LBB41_29
.LBB41_46:                              ;   in Loop: Header=BB41_24 Depth=1
	v_mul_hi_u32 v2, s4, v23
	v_add3_u32 v2, v8, v2, s22
	v_lshrrev_b32_e32 v2, s27, v2
	v_mad_u64_u32 v[24:25], s[34:35], s5, v2, v[8:9]
	v_add_u16_e32 v24, -2, v24
	global_store_byte v2, v24, s[12:13]
	s_or_b64 exec, exec, s[10:11]
	v_cmp_eq_u32_e32 vcc, s6, v3
	s_and_saveexec_b64 s[10:11], vcc
	s_cbranch_execz .LBB41_31
.LBB41_47:                              ;   in Loop: Header=BB41_24 Depth=1
	v_mul_hi_u32 v2, s4, v22
	v_add3_u32 v2, v8, v2, s23
	v_lshrrev_b32_e32 v24, s27, v2
	v_mad_u64_u32 v[2:3], s[34:35], s5, v24, v[8:9]
	v_add_u16_e32 v2, -1, v2
	global_store_byte v24, v2, s[12:13]
	s_or_b64 exec, exec, s[10:11]
	v_cmp_eq_u32_e32 vcc, s6, v4
	s_and_saveexec_b64 s[10:11], vcc
	s_cbranch_execz .LBB41_32
.LBB41_48:                              ;   in Loop: Header=BB41_24 Depth=1
	v_mul_hi_u32 v2, s4, v21
	v_add3_u32 v2, v8, v2, s24
	v_lshrrev_b32_e32 v4, s27, v2
	v_mad_u64_u32 v[2:3], s[34:35], s5, v4, v[8:9]
	global_store_byte v4, v2, s[12:13]
	s_or_b64 exec, exec, s[10:11]
	v_cmp_eq_u32_e32 vcc, s6, v5
	s_and_saveexec_b64 s[10:11], vcc
	s_cbranch_execnz .LBB41_33
	s_branch .LBB41_34
.LBB41_49:                              ;   in Loop: Header=BB41_24 Depth=1
	v_mul_hi_u32 v2, s4, v16
	v_add3_u32 v2, v8, v2, s28
	v_lshrrev_b32_e32 v2, s27, v2
	v_mad_u64_u32 v[24:25], s[34:35], s5, v2, v[8:9]
	v_add_u16_e32 v24, -2, v24
	global_store_byte v2, v24, s[12:13]
	s_or_b64 exec, exec, s[10:11]
	v_cmp_eq_u32_e32 vcc, s6, v3
	s_and_saveexec_b64 s[10:11], vcc
	s_cbranch_execz .LBB41_36
.LBB41_50:                              ;   in Loop: Header=BB41_24 Depth=1
	v_mul_hi_u32 v2, s4, v15
	v_add3_u32 v2, v8, v2, s29
	v_lshrrev_b32_e32 v24, s27, v2
	v_mad_u64_u32 v[2:3], s[34:35], s5, v24, v[8:9]
	v_add_u16_e32 v2, -1, v2
	global_store_byte v24, v2, s[12:13]
	s_or_b64 exec, exec, s[10:11]
	v_cmp_eq_u32_e32 vcc, s6, v4
	s_and_saveexec_b64 s[10:11], vcc
	s_cbranch_execz .LBB41_37
.LBB41_51:                              ;   in Loop: Header=BB41_24 Depth=1
	v_mul_hi_u32 v2, s4, v14
	v_add3_u32 v2, v8, v2, s30
	v_lshrrev_b32_e32 v4, s27, v2
	v_mad_u64_u32 v[2:3], s[34:35], s5, v4, v[8:9]
	global_store_byte v4, v2, s[12:13]
	s_or_b64 exec, exec, s[10:11]
	v_cmp_eq_u32_e32 vcc, s6, v5
	s_and_saveexec_b64 s[10:11], vcc
	s_cbranch_execnz .LBB41_38
	s_branch .LBB41_39
.LBB41_52:                              ;   in Loop: Header=BB41_24 Depth=1
	v_mul_hi_u32 v2, s4, v13
	v_add3_u32 v2, v8, v2, -3
	v_lshrrev_b32_e32 v2, s27, v2
	v_mad_u64_u32 v[24:25], s[34:35], s5, v2, v[8:9]
	v_add_u16_e32 v24, -2, v24
	global_store_byte v2, v24, s[12:13]
	s_or_b64 exec, exec, s[10:11]
	v_cmp_eq_u32_e32 vcc, s6, v3
	s_and_saveexec_b64 s[10:11], vcc
	s_cbranch_execz .LBB41_41
.LBB41_53:                              ;   in Loop: Header=BB41_24 Depth=1
	v_mul_hi_u32 v2, s4, v12
	v_add3_u32 v2, v8, v2, -2
	v_lshrrev_b32_e32 v24, s27, v2
	v_mad_u64_u32 v[2:3], s[34:35], s5, v24, v[8:9]
	v_add_u16_e32 v2, -1, v2
	global_store_byte v24, v2, s[12:13]
	s_or_b64 exec, exec, s[10:11]
	v_cmp_eq_u32_e32 vcc, s6, v4
	s_and_saveexec_b64 s[10:11], vcc
	s_cbranch_execz .LBB41_42
.LBB41_54:                              ;   in Loop: Header=BB41_24 Depth=1
	v_mul_hi_u32 v2, s4, v9
	v_add3_u32 v2, v8, v2, -1
	v_lshrrev_b32_e32 v4, s27, v2
	v_mad_u64_u32 v[2:3], s[34:35], s5, v4, v[8:9]
	global_store_byte v4, v2, s[12:13]
	s_or_b64 exec, exec, s[10:11]
	v_cmp_eq_u32_e32 vcc, s6, v5
	s_and_saveexec_b64 s[10:11], vcc
	s_cbranch_execz .LBB41_23
.LBB41_55:                              ;   in Loop: Header=BB41_24 Depth=1
	v_mul_hi_u32 v2, s4, v8
	v_add_u32_e32 v2, v8, v2
	v_lshrrev_b32_e32 v4, s27, v2
	v_mad_u64_u32 v[2:3], s[34:35], s5, v4, v[8:9]
	v_add_u16_e32 v2, 1, v2
	global_store_byte v4, v2, s[12:13]
	s_branch .LBB41_23
.LBB41_56:
	s_or_b64 exec, exec, s[16:17]
	s_cmp_lt_i32 s9, 4
	v_mov_b32_e32 v5, 0
	s_waitcnt lgkmcnt(0)
	s_barrier
	s_cbranch_scc1 .LBB41_61
; %bb.57:
	s_ashr_i32 s0, s9, 31
	s_lshr_b32 s0, s0, 30
	s_add_i32 s0, s9, s0
	s_ashr_i32 s4, s0, 2
	s_add_i32 s0, s4, 0x1ff
	s_lshr_b32 s0, s0, 9
	v_mbcnt_lo_u32_b32 v2, -1, 0
	v_mbcnt_hi_u32_b32 v2, -1, v2
	s_max_u32 s5, s0, 1
	v_lshlrev_b32_e32 v2, 2, v2
	s_add_u32 s0, s2, s7
	v_xor_b32_e32 v4, 4, v2
	v_xor_b32_e32 v6, 8, v2
	v_xor_b32_e32 v7, 16, v2
	v_xor_b32_e32 v8, 32, v2
	v_xor_b32_e32 v9, 64, v2
	v_xor_b32_e32 v10, 0x80, v2
	v_lshlrev_b32_e32 v2, 2, v0
	s_addc_u32 s1, s3, s26
	v_mov_b32_e32 v3, s1
	v_add_co_u32_e32 v2, vcc, s0, v2
	v_mov_b32_e32 v1, 0
	v_addc_co_u32_e32 v3, vcc, 0, v3, vcc
	s_movk_i32 s2, 0xff
	v_mov_b32_e32 v11, v0
	v_mov_b32_e32 v5, 0
	s_branch .LBB41_59
.LBB41_58:                              ;   in Loop: Header=BB41_59 Depth=1
	s_or_b64 exec, exec, s[0:1]
	s_waitcnt vmcnt(0)
	v_lshrrev_b32_e32 v13, 8, v12
	v_cmp_ne_u16_sdwa s[0:1], v13, v1 src0_sel:BYTE_0 src1_sel:DWORD
	v_cndmask_b32_e64 v13, 0, 1, s[0:1]
	v_cmp_ne_u16_sdwa vcc, v12, v1 src0_sel:BYTE_0 src1_sel:DWORD
	v_addc_co_u32_e32 v13, vcc, 0, v13, vcc
	v_and_b32_sdwa v14, v12, s2 dst_sel:DWORD dst_unused:UNUSED_PAD src0_sel:WORD_1 src1_sel:DWORD
	v_cmp_ne_u16_e32 vcc, 0, v14
	v_cndmask_b32_e64 v14, 0, 1, vcc
	v_cmp_ne_u16_sdwa vcc, v12, v1 src0_sel:BYTE_3 src1_sel:DWORD
	v_addc_co_u32_e32 v12, vcc, v13, v14, vcc
	ds_bpermute_b32 v13, v4, v12
	s_add_i32 s5, s5, -1
	v_add_co_u32_e32 v2, vcc, 0x800, v2
	v_addc_co_u32_e32 v3, vcc, 0, v3, vcc
	s_waitcnt lgkmcnt(0)
	v_add_u32_e32 v12, v12, v13
	ds_bpermute_b32 v13, v6, v12
	s_cmp_eq_u32 s5, 0
	v_add_u32_e32 v11, 0x200, v11
	s_waitcnt lgkmcnt(0)
	v_add_u32_e32 v12, v12, v13
	ds_bpermute_b32 v13, v7, v12
	s_waitcnt lgkmcnt(0)
	v_add_u32_e32 v12, v12, v13
	ds_bpermute_b32 v13, v8, v12
	s_waitcnt lgkmcnt(0)
	v_add_u32_e32 v12, v12, v13
	ds_bpermute_b32 v13, v9, v12
	s_waitcnt lgkmcnt(0)
	v_add_u32_e32 v12, v12, v13
	ds_bpermute_b32 v13, v10, v12
	s_waitcnt lgkmcnt(0)
	v_add3_u32 v5, v13, v5, v12
	s_cbranch_scc1 .LBB41_61
.LBB41_59:                              ; =>This Inner Loop Header: Depth=1
	v_cmp_gt_i32_e32 vcc, s4, v11
	v_mov_b32_e32 v12, 0
	s_and_saveexec_b64 s[0:1], vcc
	s_cbranch_execz .LBB41_58
; %bb.60:                               ;   in Loop: Header=BB41_59 Depth=1
	global_load_dword v12, v[2:3], off
	s_branch .LBB41_58
.LBB41_61:
	v_and_b32_e32 v1, 63, v0
	v_cmp_eq_u32_e32 vcc, 0, v1
	s_and_saveexec_b64 s[0:1], vcc
	s_cbranch_execz .LBB41_63
; %bb.62:
	v_lshrrev_b32_e32 v1, 4, v0
	v_and_b32_e32 v1, 60, v1
	ds_write_b32 v1, v5
.LBB41_63:
	s_or_b64 exec, exec, s[0:1]
	v_cmp_eq_u32_e32 vcc, 0, v0
	s_waitcnt lgkmcnt(0)
	s_barrier
	s_and_saveexec_b64 s[0:1], vcc
	s_cbranch_execz .LBB41_65
; %bb.64:
	v_mov_b32_e32 v8, 0
	ds_read_b128 v[0:3], v8
	ds_read_b128 v[4:7], v8 offset:16
	s_ashr_i32 s7, s6, 31
	s_lshl_b64 s[0:1], s[6:7], 2
	s_add_u32 s0, s14, s0
	s_waitcnt lgkmcnt(1)
	v_add_u32_e32 v0, v1, v0
	v_add_u32_e32 v0, v0, v2
	;; [unrolled: 1-line block ×3, first 2 shown]
	s_waitcnt lgkmcnt(0)
	v_add_u32_e32 v0, v0, v4
	v_add_u32_e32 v0, v0, v5
	;; [unrolled: 1-line block ×4, first 2 shown]
	s_addc_u32 s1, s15, s1
	global_store_dword v8, v0, s[0:1]
.LBB41_65:
	s_endpgm
	.section	.rodata,"a",@progbits
	.p2align	6, 0x0
	.amdhsa_kernel _ZN5aiter22opus_moe_sorting_entryINS_32MoeSortingMultiPhaseKernel_P0_v2INS_19MoeSortingProblemMpIifhLi4ELb0ELb0ELb1EEEEENS4_5KargsEEEvT0_
		.amdhsa_group_segment_fixed_size 32
		.amdhsa_private_segment_fixed_size 0
		.amdhsa_kernarg_size 72
		.amdhsa_user_sgpr_count 6
		.amdhsa_user_sgpr_private_segment_buffer 1
		.amdhsa_user_sgpr_dispatch_ptr 0
		.amdhsa_user_sgpr_queue_ptr 0
		.amdhsa_user_sgpr_kernarg_segment_ptr 1
		.amdhsa_user_sgpr_dispatch_id 0
		.amdhsa_user_sgpr_flat_scratch_init 0
		.amdhsa_user_sgpr_kernarg_preload_length 0
		.amdhsa_user_sgpr_kernarg_preload_offset 0
		.amdhsa_user_sgpr_private_segment_size 0
		.amdhsa_uses_dynamic_stack 0
		.amdhsa_system_sgpr_private_segment_wavefront_offset 0
		.amdhsa_system_sgpr_workgroup_id_x 1
		.amdhsa_system_sgpr_workgroup_id_y 0
		.amdhsa_system_sgpr_workgroup_id_z 0
		.amdhsa_system_sgpr_workgroup_info 0
		.amdhsa_system_vgpr_workitem_id 0
		.amdhsa_next_free_vgpr 32
		.amdhsa_next_free_sgpr 36
		.amdhsa_accum_offset 32
		.amdhsa_reserve_vcc 1
		.amdhsa_reserve_flat_scratch 0
		.amdhsa_float_round_mode_32 0
		.amdhsa_float_round_mode_16_64 0
		.amdhsa_float_denorm_mode_32 3
		.amdhsa_float_denorm_mode_16_64 3
		.amdhsa_dx10_clamp 1
		.amdhsa_ieee_mode 1
		.amdhsa_fp16_overflow 0
		.amdhsa_tg_split 0
		.amdhsa_exception_fp_ieee_invalid_op 0
		.amdhsa_exception_fp_denorm_src 0
		.amdhsa_exception_fp_ieee_div_zero 0
		.amdhsa_exception_fp_ieee_overflow 0
		.amdhsa_exception_fp_ieee_underflow 0
		.amdhsa_exception_fp_ieee_inexact 0
		.amdhsa_exception_int_div_zero 0
	.end_amdhsa_kernel
	.section	.text._ZN5aiter22opus_moe_sorting_entryINS_32MoeSortingMultiPhaseKernel_P0_v2INS_19MoeSortingProblemMpIifhLi4ELb0ELb0ELb1EEEEENS4_5KargsEEEvT0_,"axG",@progbits,_ZN5aiter22opus_moe_sorting_entryINS_32MoeSortingMultiPhaseKernel_P0_v2INS_19MoeSortingProblemMpIifhLi4ELb0ELb0ELb1EEEEENS4_5KargsEEEvT0_,comdat
.Lfunc_end41:
	.size	_ZN5aiter22opus_moe_sorting_entryINS_32MoeSortingMultiPhaseKernel_P0_v2INS_19MoeSortingProblemMpIifhLi4ELb0ELb0ELb1EEEEENS4_5KargsEEEvT0_, .Lfunc_end41-_ZN5aiter22opus_moe_sorting_entryINS_32MoeSortingMultiPhaseKernel_P0_v2INS_19MoeSortingProblemMpIifhLi4ELb0ELb0ELb1EEEEENS4_5KargsEEEvT0_
                                        ; -- End function
	.section	.AMDGPU.csdata,"",@progbits
; Kernel info:
; codeLenInByte = 3136
; NumSgprs: 40
; NumVgprs: 32
; NumAgprs: 0
; TotalNumVgprs: 32
; ScratchSize: 0
; MemoryBound: 0
; FloatMode: 240
; IeeeMode: 1
; LDSByteSize: 32 bytes/workgroup (compile time only)
; SGPRBlocks: 4
; VGPRBlocks: 3
; NumSGPRsForWavesPerEU: 40
; NumVGPRsForWavesPerEU: 32
; AccumOffset: 32
; Occupancy: 8
; WaveLimiterHint : 0
; COMPUTE_PGM_RSRC2:SCRATCH_EN: 0
; COMPUTE_PGM_RSRC2:USER_SGPR: 6
; COMPUTE_PGM_RSRC2:TRAP_HANDLER: 0
; COMPUTE_PGM_RSRC2:TGID_X_EN: 1
; COMPUTE_PGM_RSRC2:TGID_Y_EN: 0
; COMPUTE_PGM_RSRC2:TGID_Z_EN: 0
; COMPUTE_PGM_RSRC2:TIDIG_COMP_CNT: 0
; COMPUTE_PGM_RSRC3_GFX90A:ACCUM_OFFSET: 7
; COMPUTE_PGM_RSRC3_GFX90A:TG_SPLIT: 0
	.section	.text._ZN5aiter22opus_moe_sorting_entryINS_30MoeSortingMultiPhaseKernel_P23INS_19MoeSortingProblemMpIifhLi16ELb0ELb0ELb1EEEEENS4_5KargsEEEvT0_,"axG",@progbits,_ZN5aiter22opus_moe_sorting_entryINS_30MoeSortingMultiPhaseKernel_P23INS_19MoeSortingProblemMpIifhLi16ELb0ELb0ELb1EEEEENS4_5KargsEEEvT0_,comdat
	.protected	_ZN5aiter22opus_moe_sorting_entryINS_30MoeSortingMultiPhaseKernel_P23INS_19MoeSortingProblemMpIifhLi16ELb0ELb0ELb1EEEEENS4_5KargsEEEvT0_ ; -- Begin function _ZN5aiter22opus_moe_sorting_entryINS_30MoeSortingMultiPhaseKernel_P23INS_19MoeSortingProblemMpIifhLi16ELb0ELb0ELb1EEEEENS4_5KargsEEEvT0_
	.globl	_ZN5aiter22opus_moe_sorting_entryINS_30MoeSortingMultiPhaseKernel_P23INS_19MoeSortingProblemMpIifhLi16ELb0ELb0ELb1EEEEENS4_5KargsEEEvT0_
	.p2align	8
	.type	_ZN5aiter22opus_moe_sorting_entryINS_30MoeSortingMultiPhaseKernel_P23INS_19MoeSortingProblemMpIifhLi16ELb0ELb0ELb1EEEEENS4_5KargsEEEvT0_,@function
_ZN5aiter22opus_moe_sorting_entryINS_30MoeSortingMultiPhaseKernel_P23INS_19MoeSortingProblemMpIifhLi16ELb0ELb0ELb1EEEEENS4_5KargsEEEvT0_: ; @_ZN5aiter22opus_moe_sorting_entryINS_30MoeSortingMultiPhaseKernel_P23INS_19MoeSortingProblemMpIifhLi16ELb0ELb0ELb1EEEEENS4_5KargsEEEvT0_
; %bb.0:
	s_load_dwordx4 s[52:55], s[4:5], 0x60
	s_load_dwordx16 s[36:51], s[4:5], 0x20
	s_mov_b64 s[0:1], -1
	s_waitcnt lgkmcnt(0)
	s_cmp_lt_i32 s6, s53
	s_cbranch_scc1 .LBB42_5
; %bb.1:
	s_load_dwordx2 s[0:1], s[4:5], 0x84
	s_sub_i32 s7, s6, s53
	v_lshl_add_u32 v2, s7, 8, v0
	v_mov_b32_e32 v3, 0
	s_waitcnt lgkmcnt(0)
	s_ashr_i32 s2, s0, 31
	s_mul_hi_i32 s3, s1, s52
	s_mul_i32 s1, s1, s52
	s_mul_i32 s2, s1, s2
	s_mul_hi_u32 s8, s1, s0
	s_add_i32 s2, s8, s2
	s_mul_i32 s3, s3, s0
	s_add_i32 s2, s2, s3
	s_mul_i32 s1, s1, s0
	s_ashr_i32 s0, s2, 31
	s_lshr_b32 s0, s0, 28
	s_add_u32 s0, s1, s0
	s_addc_u32 s1, s2, 0
	s_ashr_i64 s[2:3], s[0:1], 4
	v_cmp_gt_i64_e32 vcc, s[2:3], v[2:3]
	s_and_saveexec_b64 s[8:9], vcc
	s_cbranch_execz .LBB42_4
; %bb.2:
	s_load_dword s0, s[4:5], 0x90
	v_lshlrev_b64 v[4:5], 4, v[2:3]
	v_mov_b32_e32 v1, s49
	v_add_co_u32_e32 v8, vcc, s48, v4
	s_waitcnt lgkmcnt(0)
	s_sub_i32 s0, s0, s53
	s_lshl_b32 s10, s0, 8
	s_ashr_i32 s11, s10, 31
	s_lshl_b64 s[12:13], s[10:11], 4
	v_pk_mov_b32 v[6:7], v[2:3], v[2:3] op_sel:[0,1]
	v_addc_co_u32_e32 v9, vcc, v1, v5, vcc
	s_mov_b64 s[14:15], 0
	v_mov_b32_e32 v2, v3
	v_mov_b32_e32 v4, v3
	;; [unrolled: 1-line block ×5, first 2 shown]
.LBB42_3:                               ; =>This Inner Loop Header: Depth=1
	v_add_co_u32_e32 v6, vcc, s10, v6
	v_addc_co_u32_e32 v7, vcc, v7, v1, vcc
	global_store_dwordx4 v[8:9], v[2:5], off
	v_add_co_u32_e32 v8, vcc, s12, v8
	v_cmp_le_i64_e64 s[0:1], s[2:3], v[6:7]
	s_or_b64 s[14:15], s[0:1], s[14:15]
	v_addc_co_u32_e32 v9, vcc, v9, v10, vcc
	s_andn2_b64 exec, exec, s[14:15]
	s_cbranch_execnz .LBB42_3
.LBB42_4:
	s_or_b64 exec, exec, s[8:9]
	s_mov_b64 s[0:1], 0
.LBB42_5:
	s_andn2_b64 vcc, exec, s[0:1]
	s_cbranch_vccnz .LBB42_89
; %bb.6:
	s_load_dwordx4 s[28:31], s[4:5], 0x70
	s_lshl_b32 s0, s53, 2
	s_add_i32 s7, s0, 0
	s_add_i32 s7, s7, 48
	s_waitcnt lgkmcnt(0)
	s_mov_b32 s31, 0
	v_lshrrev_b32_e32 v8, 6, v0
	s_cmp_lt_i32 s53, 1
	v_and_b32_e32 v10, 63, v0
	s_cbranch_scc1 .LBB42_29
; %bb.7:
	s_add_i32 s0, s53, 0xff
	s_lshr_b32 s33, s0, 8
	s_add_i32 s56, s55, -1
	v_mbcnt_lo_u32_b32 v2, -1, 0
	v_mbcnt_hi_u32_b32 v2, -1, v2
	s_cmp_lg_u64 s[50:51], 0
	v_lshlrev_b32_e32 v3, 2, v2
	s_cselect_b64 s[16:17], -1, 0
	s_movk_i32 s14, 0xff
	v_and_b32_e32 v3, 0xc0, v3
	v_cmp_lt_u32_e64 s[0:1], 15, v2
	v_cmp_lt_u32_e64 s[2:3], 31, v2
	s_movk_i32 s10, 0x7f
	s_movk_i32 s12, 0xbf
	s_cmp_eq_u32 s6, 0
	v_cndmask_b32_e64 v2, 0, 1, s[16:17]
	v_mov_b32_e32 v1, 0
	v_add_u32_e32 v9, -4, v3
	v_add_u32_e32 v11, 0xffffffbc, v3
	v_cmp_eq_u32_e64 s[18:19], 63, v10
	v_lshl_add_u32 v12, v8, 2, 0
	v_cmp_gt_u32_e64 s[8:9], 64, v0
	v_cmp_lt_u32_e64 s[10:11], s10, v0
	v_cmp_lt_u32_e64 s[12:13], s12, v0
	v_cmp_eq_u32_e64 s[14:15], s14, v0
	s_cselect_b64 s[22:23], -1, 0
	s_add_i32 s57, s7, 4
	v_mov_b32_e32 v13, 0
	v_cmp_ne_u32_e64 s[16:17], 1, v2
	v_mov_b32_e32 v14, 0
	v_mov_b32_e32 v3, 0
.LBB42_8:                               ; =>This Loop Header: Depth=1
                                        ;     Child Loop BB42_21 Depth 2
                                        ;     Child Loop BB42_26 Depth 2
	v_lshl_add_u32 v4, s31, 8, v0
	v_cmp_gt_i32_e32 vcc, s53, v4
	v_mov_b32_e32 v2, 0
	s_and_saveexec_b64 s[24:25], vcc
	s_cbranch_execz .LBB42_10
; %bb.9:                                ;   in Loop: Header=BB42_8 Depth=1
	v_ashrrev_i32_e32 v5, 31, v4
	v_lshlrev_b64 v[6:7], 2, v[4:5]
	v_mov_b32_e32 v2, s39
	v_add_co_u32_e64 v6, s[20:21], s38, v6
	v_addc_co_u32_e64 v7, s[20:21], v2, v7, s[20:21]
	global_load_dword v2, v[6:7], off
.LBB42_10:                              ;   in Loop: Header=BB42_8 Depth=1
	s_or_b64 exec, exec, s[24:25]
	s_waitcnt vmcnt(0)
	v_add_u32_e32 v2, s56, v2
	v_mul_hi_u32 v5, v2, s28
	v_add_u32_e32 v2, v2, v5
	v_lshrrev_b32_e32 v17, s29, v2
	v_mov_b32_dpp v6, v13 row_shr:1 row_mask:0xf bank_mask:0xf bound_ctrl:1
	s_nop 0
	v_mov_b32_dpp v15, v17 row_shr:1 row_mask:0xf bank_mask:0xf bound_ctrl:1
	v_add_u32_e32 v2, v17, v15
	v_add_u32_dpp v6, v6, v6 row_shr:2 row_mask:0xf bank_mask:0xf bound_ctrl:1
	s_barrier
	v_mov_b32_dpp v16, v2 row_shr:2 row_mask:0xf bank_mask:0xf bound_ctrl:1
	v_add_u32_e32 v2, v2, v16
	v_add_u32_dpp v6, v6, v6 row_shr:4 row_mask:0xf bank_mask:0xf bound_ctrl:1
	s_nop 0
	v_mov_b32_dpp v18, v2 row_shr:4 row_mask:0xf bank_mask:0xf bound_ctrl:1
	v_add_u32_e32 v2, v2, v18
	v_add_u32_dpp v6, v6, v6 row_shr:8 row_mask:0xf bank_mask:0xf bound_ctrl:1
	ds_bpermute_b32 v7, v9, v6
	v_mov_b32_dpp v19, v2 row_shr:8 row_mask:0xf bank_mask:0xf bound_ctrl:1
	v_add_u32_e32 v2, v2, v19
	ds_bpermute_b32 v5, v9, v2
	s_waitcnt lgkmcnt(1)
	v_cndmask_b32_e64 v7, 0, v7, s[0:1]
	v_add_u32_e32 v6, v7, v6
	ds_bpermute_b32 v7, v11, v6
	s_waitcnt lgkmcnt(1)
	v_cndmask_b32_e64 v20, 0, v5, s[0:1]
	;; [unrolled: 4-line block ×3, first 2 shown]
	v_add_u32_e32 v5, v2, v21
	v_cndmask_b32_e64 v2, 0, v7, s[2:3]
	v_add_u32_e32 v2, v2, v6
	s_and_saveexec_b64 s[20:21], s[18:19]
	s_cbranch_execz .LBB42_12
; %bb.11:                               ;   in Loop: Header=BB42_8 Depth=1
	ds_write2_b32 v12, v5, v2 offset0:4 offset1:8
.LBB42_12:                              ;   in Loop: Header=BB42_8 Depth=1
	s_or_b64 exec, exec, s[20:21]
	s_waitcnt lgkmcnt(0)
	s_barrier
	ds_read2_b32 v[6:7], v1 offset0:4 offset1:5
	ds_read_b32 v24, v1 offset:24
	s_waitcnt lgkmcnt(1)
	v_cndmask_b32_e64 v22, v6, 0, s[8:9]
	v_cndmask_b32_e64 v23, 0, v7, s[10:11]
	s_waitcnt lgkmcnt(0)
	v_cndmask_b32_e64 v24, 0, v24, s[12:13]
	v_add3_u32 v5, v5, v14, v22
	v_add3_u32 v5, v5, v23, v24
	s_and_saveexec_b64 s[20:21], s[14:15]
	s_cbranch_execz .LBB42_14
; %bb.13:                               ;   in Loop: Header=BB42_8 Depth=1
	ds_read2_b32 v[6:7], v1 offset0:8 offset1:9
	ds_read_b32 v25, v1 offset:40
	s_waitcnt lgkmcnt(0)
	v_add_u32_e32 v7, v25, v7
	v_add_u32_e32 v6, v7, v6
	;; [unrolled: 1-line block ×4, first 2 shown]
	ds_write2_b32 v1, v5, v2 offset0:2 offset1:3
.LBB42_14:                              ;   in Loop: Header=BB42_8 Depth=1
	s_or_b64 exec, exec, s[20:21]
	s_waitcnt lgkmcnt(0)
	s_barrier
	ds_read2_b32 v[2:3], v1 offset0:2 offset1:3
	s_and_saveexec_b64 s[20:21], vcc
	s_cbranch_execz .LBB42_17
; %bb.15:                               ;   in Loop: Header=BB42_8 Depth=1
	v_sub_u32_e32 v5, v5, v17
	v_mul_lo_u32 v5, v5, s55
	v_lshl_add_u32 v6, v4, 2, 0
	s_and_b64 vcc, exec, s[16:17]
	ds_write_b32 v6, v5 offset:48
	s_cbranch_vccnz .LBB42_17
; %bb.16:                               ;   in Loop: Header=BB42_8 Depth=1
	v_lshl_add_u32 v5, v4, 2, s57
	ds_write_b32 v5, v4
.LBB42_17:                              ;   in Loop: Header=BB42_8 Depth=1
	s_or_b64 exec, exec, s[20:21]
	v_cmp_lt_i32_e32 vcc, 0, v17
	s_and_b64 s[24:25], s[22:23], vcc
	s_and_saveexec_b64 s[20:21], s[24:25]
	s_cbranch_execz .LBB42_27
; %bb.18:                               ;   in Loop: Header=BB42_8 Depth=1
	v_cmp_gt_u32_e64 s[24:25], 10, v17
	v_cmp_lt_u32_e32 vcc, 9, v17
	v_mov_b32_e32 v25, 0
	s_and_saveexec_b64 s[26:27], vcc
	s_cbranch_execz .LBB42_24
; %bb.19:                               ;   in Loop: Header=BB42_8 Depth=1
	v_add_u32_e32 v5, v20, v21
	v_add3_u32 v5, v5, v23, v24
	v_add3_u32 v5, v5, v22, v15
	;; [unrolled: 1-line block ×4, first 2 shown]
	v_add3_u32 v5, v17, v6, -1
	v_cmp_ge_i32_e32 vcc, v5, v6
	s_mov_b64 s[48:49], -1
	v_mov_b32_e32 v25, 0
	s_and_saveexec_b64 s[34:35], vcc
	s_cbranch_execz .LBB42_23
; %bb.20:                               ;   in Loop: Header=BB42_8 Depth=1
	v_and_b32_e32 v25, 0x7ffffffe, v17
	v_mov_b32_e32 v5, v4
	s_mov_b64 s[48:49], 0
	v_mov_b32_e32 v26, v25
.LBB42_21:                              ;   Parent Loop BB42_8 Depth=1
                                        ; =>  This Inner Loop Header: Depth=2
	v_ashrrev_i32_e32 v7, 31, v6
	v_lshlrev_b64 v[28:29], 2, v[6:7]
	v_mov_b32_e32 v7, s43
	v_add_co_u32_e32 v28, vcc, s42, v28
	v_addc_co_u32_e32 v29, vcc, v7, v29, vcc
	v_add_u32_e32 v26, -2, v26
	v_cmp_eq_u32_e32 vcc, 0, v26
	s_or_b64 s[48:49], vcc, s[48:49]
	v_add_u32_e32 v6, 2, v6
	global_store_dwordx2 v[28:29], v[4:5], off
	s_andn2_b64 exec, exec, s[48:49]
	s_cbranch_execnz .LBB42_21
; %bb.22:                               ;   in Loop: Header=BB42_8 Depth=1
	s_or_b64 exec, exec, s[48:49]
	v_cmp_ne_u32_e32 vcc, v17, v25
	s_orn2_b64 s[48:49], vcc, exec
.LBB42_23:                              ;   in Loop: Header=BB42_8 Depth=1
	s_or_b64 exec, exec, s[34:35]
	s_andn2_b64 s[24:25], s[24:25], exec
	s_and_b64 s[34:35], s[48:49], exec
	s_or_b64 s[24:25], s[24:25], s[34:35]
.LBB42_24:                              ;   in Loop: Header=BB42_8 Depth=1
	s_or_b64 exec, exec, s[26:27]
	s_and_b64 exec, exec, s[24:25]
	s_cbranch_execz .LBB42_27
; %bb.25:                               ;   in Loop: Header=BB42_8 Depth=1
	v_add3_u32 v6, v14, v20, v21
	v_add3_u32 v6, v6, v23, v24
	;; [unrolled: 1-line block ×4, first 2 shown]
	v_sub_u32_e32 v5, v17, v25
	v_add3_u32 v6, v6, v19, v25
	s_mov_b64 s[24:25], 0
.LBB42_26:                              ;   Parent Loop BB42_8 Depth=1
                                        ; =>  This Inner Loop Header: Depth=2
	v_ashrrev_i32_e32 v7, 31, v6
	v_lshlrev_b64 v[14:15], 2, v[6:7]
	v_mov_b32_e32 v7, s43
	v_add_co_u32_e32 v14, vcc, s42, v14
	v_addc_co_u32_e32 v15, vcc, v7, v15, vcc
	v_add_u32_e32 v5, -1, v5
	v_cmp_eq_u32_e32 vcc, 0, v5
	s_or_b64 s[24:25], vcc, s[24:25]
	v_add_u32_e32 v6, 1, v6
	global_store_dword v[14:15], v4, off
	s_andn2_b64 exec, exec, s[24:25]
	s_cbranch_execnz .LBB42_26
.LBB42_27:                              ;   in Loop: Header=BB42_8 Depth=1
	s_or_b64 exec, exec, s[20:21]
	s_add_i32 s31, s31, 1
	s_cmp_eq_u32 s31, s33
	s_cbranch_scc1 .LBB42_30
; %bb.28:                               ;   in Loop: Header=BB42_8 Depth=1
	s_waitcnt lgkmcnt(0)
	v_mov_b32_e32 v14, v2
	s_branch .LBB42_8
.LBB42_29:
	v_mov_b32_e32 v2, 0
.LBB42_30:
	s_load_dwordx4 s[56:59], s[4:5], 0x0
	v_cmp_eq_u32_e32 vcc, 0, v0
	s_and_saveexec_b64 s[0:1], vcc
	s_cbranch_execz .LBB42_34
; %bb.31:
	s_cmp_lg_u32 s6, 0
	s_waitcnt lgkmcnt(0)
	v_mul_lo_u32 v2, v2, s55
	s_cbranch_scc1 .LBB42_33
; %bb.32:
	v_mov_b32_e32 v1, 0
	v_mov_b32_e32 v3, s52
	global_store_dwordx2 v1, v[2:3], s[40:41]
.LBB42_33:
	v_mov_b32_e32 v1, s7
	ds_write_b32 v1, v2
.LBB42_34:
	s_or_b64 exec, exec, s[0:1]
	s_cmp_eq_u64 s[50:51], 0
	s_cselect_b64 s[0:1], -1, 0
	s_cmp_lg_u32 s6, 0
	s_cselect_b64 s[2:3], -1, 0
	s_or_b64 s[0:1], s[2:3], s[0:1]
	s_and_b64 vcc, exec, s[0:1]
	s_waitcnt lgkmcnt(0)
	s_barrier
	s_cbranch_vccnz .LBB42_39
; %bb.35:
	s_mul_i32 s4, s30, s52
	v_cmp_gt_i32_e32 vcc, s4, v0
	s_and_saveexec_b64 s[0:1], vcc
	s_cbranch_execz .LBB42_38
; %bb.36:
	v_lshlrev_b32_e32 v1, 2, v0
	v_mov_b32_e32 v3, s57
	v_add_co_u32_e32 v2, vcc, s56, v1
	v_addc_co_u32_e32 v3, vcc, 0, v3, vcc
	v_mov_b32_e32 v5, s51
	v_add_co_u32_e32 v4, vcc, s50, v1
	v_addc_co_u32_e32 v5, vcc, 0, v5, vcc
	s_mov_b64 s[2:3], 0
	v_mov_b32_e32 v1, v0
.LBB42_37:                              ; =>This Inner Loop Header: Depth=1
	global_load_dword v6, v[2:3], off
	v_add_co_u32_e32 v2, vcc, 0x400, v2
	v_add_u32_e32 v1, 0x100, v1
	v_addc_co_u32_e32 v3, vcc, 0, v3, vcc
	v_cmp_le_i32_e32 vcc, s4, v1
	s_or_b64 s[2:3], vcc, s[2:3]
	s_waitcnt vmcnt(0)
	v_max_i32_e32 v7, -1, v6
	v_cmp_gt_i32_e32 vcc, s53, v6
	v_cndmask_b32_e32 v6, -1, v7, vcc
	global_store_dword v[4:5], v6, off
	v_add_co_u32_e32 v4, vcc, 0x400, v4
	v_addc_co_u32_e32 v5, vcc, 0, v5, vcc
	s_andn2_b64 exec, exec, s[2:3]
	s_cbranch_execnz .LBB42_37
.LBB42_38:
	s_or_b64 exec, exec, s[0:1]
.LBB42_39:
	s_lshl_b32 s0, s6, 2
	s_add_i32 s0, s0, 0
	v_mov_b32_e32 v1, s0
	ds_read2_b32 v[6:7], v1 offset0:12 offset1:13
	s_waitcnt lgkmcnt(0)
	v_cmp_eq_u32_e32 vcc, v6, v7
	s_cbranch_vccnz .LBB42_89
; %bb.40:
	s_cmp_lt_i32 s54, 16
	v_mov_b32_e32 v19, 0
	s_cbranch_scc1 .LBB42_81
; %bb.41:
	s_lshr_b32 s0, s54, 4
	s_addk_i32 s0, 0xff
	s_lshr_b32 s31, s0, 8
	s_add_i32 s0, s52, 15
	s_ashr_i32 s1, s0, 31
	s_lshr_b32 s1, s1, 28
	s_add_i32 s0, s0, s1
	s_ashr_i32 s33, s0, 4
	s_mul_i32 s0, s54, s6
	s_ashr_i32 s1, s0, 31
	v_mbcnt_lo_u32_b32 v2, -1, 0
	s_add_u32 s53, s36, s0
	v_mbcnt_hi_u32_b32 v2, -1, v2
	v_lshl_add_u32 v45, v8, 2, 0
	v_lshlrev_b32_e32 v8, 4, v0
	s_addc_u32 s60, s37, s1
	v_lshlrev_b32_e32 v3, 2, v2
	v_cmp_lt_u32_e32 vcc, 15, v2
	v_cmp_lt_u32_e64 s[0:1], 31, v2
	v_or_b32_e32 v2, 15, v8
	v_cmp_eq_u32_e64 s[2:3], 63, v10
	v_mad_u64_u32 v[10:11], s[12:13], s30, v2, -1
	v_or_b32_e32 v2, 14, v8
	v_mad_u64_u32 v[14:15], s[12:13], s30, v2, -1
	v_or_b32_e32 v2, 13, v8
	;; [unrolled: 2-line block ×13, first 2 shown]
	v_mad_u64_u32 v[38:39], s[12:13], s30, v2, -1
	v_mul_lo_u32 v2, s30, v8
	s_movk_i32 s10, 0xff
	v_and_b32_e32 v3, 0xc0, v3
	s_movk_i32 s6, 0x7f
	s_movk_i32 s8, 0xbf
	v_add3_u32 v11, v2, s30, -1
	v_mul_lo_u32 v2, v0, s30
	s_mov_b32 s61, 0
	v_mov_b32_e32 v1, 0
	v_add_u32_e32 v9, -4, v3
	v_add_u32_e32 v44, 0xffffffbc, v3
	v_cmp_gt_u32_e64 s[4:5], 64, v0
	v_cmp_lt_u32_e64 s[6:7], s6, v0
	v_cmp_lt_u32_e64 s[8:9], s8, v0
	v_cmp_eq_u32_e64 s[10:11], s10, v0
	s_lshl_b32 s62, s30, 12
	v_mov_b32_e32 v13, 0
	v_lshl_add_u32 v15, v2, 4, -1
	s_mov_b64 s[34:35], 0
	s_mov_b32 s63, 0xffff
	s_mov_b32 s64, 0x4020100
	v_mov_b32_e32 v17, v0
	v_mov_b32_e32 v19, 0
	s_branch .LBB42_43
.LBB42_42:                              ;   in Loop: Header=BB42_43 Depth=1
	s_or_b64 exec, exec, s[14:15]
	s_add_i32 s61, s61, s62
	s_add_u32 s34, s34, 0x1000
	s_addc_u32 s35, s35, 0
	s_add_i32 s31, s31, -1
	s_add_u32 s53, s53, 0x1000
	s_addc_u32 s60, s60, 0
	s_cmp_eq_u32 s31, 0
	v_add_u32_e32 v17, 0x100, v17
	s_cbranch_scc1 .LBB42_81
.LBB42_43:                              ; =>This Inner Loop Header: Depth=1
	v_cmp_gt_i32_e64 s[12:13], s33, v17
	v_mov_b32_e32 v2, 0
	v_mov_b32_e32 v3, 0
	v_mov_b32_e32 v4, 0
	v_mov_b32_e32 v5, 0
	s_and_saveexec_b64 s[14:15], s[12:13]
	s_cbranch_execz .LBB42_45
; %bb.44:                               ;   in Loop: Header=BB42_43 Depth=1
	v_mov_b32_e32 v3, s60
	v_add_co_u32_e64 v2, s[12:13], s53, v8
	v_addc_co_u32_e64 v3, s[12:13], 0, v3, s[12:13]
	global_load_dwordx4 v[2:5], v[2:3], off
.LBB42_45:                              ;   in Loop: Header=BB42_43 Depth=1
	s_or_b64 exec, exec, s[14:15]
	s_waitcnt vmcnt(0)
	v_lshrrev_b32_e32 v53, 8, v2
	v_cmp_ne_u16_sdwa s[56:57], v53, v1 src0_sel:BYTE_0 src1_sel:DWORD
	v_lshrrev_b32_e32 v51, 16, v2
	v_lshrrev_b64 v[42:43], 24, v[2:3]
	v_cndmask_b32_e64 v25, 0, 1, s[56:57]
	v_cmp_ne_u16_sdwa s[26:27], v2, v1 src0_sel:BYTE_0 src1_sel:DWORD
	v_cmp_ne_u16_sdwa s[54:55], v51, v1 src0_sel:BYTE_0 src1_sel:DWORD
	v_and_b32_e32 v50, 0xff, v42
	v_lshrrev_b32_e32 v46, 16, v3
	v_lshrrev_b32_e32 v47, 8, v3
	v_addc_co_u32_e64 v25, s[12:13], 0, v25, s[26:27]
	v_cndmask_b32_e64 v27, 0, 1, s[54:55]
	v_cmp_ne_u16_e64 s[24:25], 0, v50
	v_cmp_ne_u16_sdwa s[50:51], v3, v1 src0_sel:BYTE_0 src1_sel:DWORD
	v_addc_co_u32_e64 v25, s[12:13], v25, v27, s[24:25]
	v_cndmask_b32_e64 v27, 0, 1, s[50:51]
	v_cmp_ne_u16_sdwa s[22:23], v47, v1 src0_sel:BYTE_0 src1_sel:DWORD
	v_cmp_ne_u16_sdwa s[48:49], v46, v1 src0_sel:BYTE_0 src1_sel:DWORD
	v_addc_co_u32_e64 v25, s[12:13], v25, v27, s[22:23]
	v_cndmask_b32_e64 v27, 0, 1, s[48:49]
	v_cmp_ne_u16_sdwa s[20:21], v3, v1 src0_sel:BYTE_3 src1_sel:DWORD
	v_cmp_ne_u16_sdwa s[42:43], v4, v1 src0_sel:BYTE_0 src1_sel:DWORD
	v_lshrrev_b32_e32 v37, 8, v4
	v_lshrrev_b32_e32 v33, 16, v4
	v_lshrrev_b64 v[40:41], 24, v[4:5]
	v_addc_co_u32_e64 v25, s[12:13], v25, v27, s[20:21]
	v_cndmask_b32_e64 v27, 0, 1, s[42:43]
	v_cmp_ne_u16_sdwa s[18:19], v37, v1 src0_sel:BYTE_0 src1_sel:DWORD
	v_cmp_ne_u16_sdwa s[40:41], v33, v1 src0_sel:BYTE_0 src1_sel:DWORD
	v_and_b32_e32 v31, 0xff, v40
	v_lshrrev_b32_e32 v23, 8, v5
	v_addc_co_u32_e64 v25, s[12:13], v25, v27, s[18:19]
	v_cndmask_b32_e64 v27, 0, 1, s[40:41]
	v_cmp_ne_u16_e64 s[16:17], 0, v31
	v_cmp_ne_u16_sdwa s[38:39], v5, v1 src0_sel:BYTE_0 src1_sel:DWORD
	v_lshrrev_b32_e32 v21, 16, v5
	v_addc_co_u32_e64 v25, s[12:13], v25, v27, s[16:17]
	v_cndmask_b32_e64 v27, 0, 1, s[38:39]
	v_cmp_ne_u16_sdwa s[14:15], v23, v1 src0_sel:BYTE_0 src1_sel:DWORD
	v_addc_co_u32_e64 v25, s[12:13], v25, v27, s[14:15]
	v_cmp_ne_u16_sdwa s[36:37], v21, v1 src0_sel:BYTE_0 src1_sel:DWORD
	v_cndmask_b32_e64 v27, 0, 1, s[36:37]
	v_cmp_ne_u16_sdwa s[12:13], v5, v1 src0_sel:BYTE_3 src1_sel:DWORD
	v_addc_co_u32_e64 v55, s[28:29], v25, v27, s[12:13]
	v_and_b32_e32 v12, 0xff, v2
	s_nop 0
	v_add_u32_dpp v25, v55, v55 row_shr:1 row_mask:0xf bank_mask:0xf bound_ctrl:1
	v_and_b32_e32 v54, 0xff, v53
	v_and_b32_e32 v52, 0xff, v51
	v_add_u32_dpp v25, v25, v25 row_shr:2 row_mask:0xf bank_mask:0xf bound_ctrl:1
	v_and_b32_e32 v49, 0xff, v3
	v_and_b32_e32 v48, 0xff, v47
	v_add_u32_dpp v25, v25, v25 row_shr:4 row_mask:0xf bank_mask:0xf bound_ctrl:1
	v_and_b32_e32 v43, 0xff, v46
	v_and_b32_e32 v41, 0xff, v4
	v_add_u32_dpp v25, v25, v25 row_shr:8 row_mask:0xf bank_mask:0xf bound_ctrl:1
	ds_bpermute_b32 v27, v9, v25
	v_and_b32_e32 v39, 0xff, v37
	v_and_b32_e32 v35, 0xff, v33
	;; [unrolled: 1-line block ×3, first 2 shown]
	s_waitcnt lgkmcnt(0)
	v_cndmask_b32_e32 v27, 0, v27, vcc
	v_add_u32_e32 v56, v25, v27
	ds_bpermute_b32 v57, v44, v56
	v_and_b32_e32 v27, 0xff, v23
	v_and_b32_e32 v25, 0xff, v21
	s_barrier
	s_waitcnt lgkmcnt(0)
	v_cndmask_b32_e64 v57, 0, v57, s[0:1]
	v_add_u32_e32 v56, v56, v57
	s_and_saveexec_b64 s[28:29], s[2:3]
	s_cbranch_execz .LBB42_47
; %bb.46:                               ;   in Loop: Header=BB42_43 Depth=1
	ds_write_b32 v45, v56 offset:16
.LBB42_47:                              ;   in Loop: Header=BB42_43 Depth=1
	s_or_b64 exec, exec, s[28:29]
	s_waitcnt lgkmcnt(0)
	s_barrier
	ds_read2_b32 v[58:59], v1 offset0:4 offset1:5
	ds_read_b32 v57, v1 offset:24
	s_waitcnt lgkmcnt(1)
	v_cndmask_b32_e64 v58, v58, 0, s[4:5]
	v_cndmask_b32_e64 v59, 0, v59, s[6:7]
	s_waitcnt lgkmcnt(0)
	v_cndmask_b32_e64 v57, 0, v57, s[8:9]
	v_add3_u32 v19, v56, v19, v58
	v_add3_u32 v56, v19, v59, v57
	s_and_saveexec_b64 s[28:29], s[10:11]
	s_cbranch_execz .LBB42_49
; %bb.48:                               ;   in Loop: Header=BB42_43 Depth=1
	ds_write_b32 v1, v56
.LBB42_49:                              ;   in Loop: Header=BB42_43 Depth=1
	s_or_b64 exec, exec, s[28:29]
	s_waitcnt lgkmcnt(0)
	s_barrier
	ds_read_b32 v19, v1
	v_sub_u32_e32 v56, v56, v55
	v_mov_b32_e32 v55, 0
	v_mov_b32_e32 v57, 0
	s_and_saveexec_b64 s[28:29], s[26:27]
	s_cbranch_execz .LBB42_51
; %bb.50:                               ;   in Loop: Header=BB42_43 Depth=1
	v_add3_u32 v12, v15, s61, v12
	v_lshlrev_b64 v[58:59], 2, v[12:13]
	v_mov_b32_e32 v12, s59
	v_add_co_u32_e64 v58, s[26:27], s58, v58
	v_addc_co_u32_e64 v59, s[26:27], v12, v59, s[26:27]
	global_load_dword v12, v[58:59], off
	v_add_u32_e32 v58, v56, v6
	v_ashrrev_i32_e32 v59, 31, v58
	v_add_u32_e32 v57, s34, v8
	v_lshlrev_b64 v[58:59], 2, v[58:59]
	v_mov_b32_e32 v61, s45
	v_and_b32_e32 v57, 0xfffff0, v57
	v_add_co_u32_e64 v60, s[26:27], s44, v58
	v_lshl_or_b32 v2, v2, 24, v57
	v_addc_co_u32_e64 v61, s[26:27], v61, v59, s[26:27]
	v_mov_b32_e32 v62, s47
	v_add_u32_e32 v2, 0xff000000, v2
	v_add_co_u32_e64 v58, s[26:27], s46, v58
	v_mov_b32_e32 v57, 1
	v_addc_co_u32_e64 v59, s[26:27], v62, v59, s[26:27]
	global_store_dword v[60:61], v2, off
	s_waitcnt vmcnt(1)
	global_store_dword v[58:59], v12, off
.LBB42_51:                              ;   in Loop: Header=BB42_43 Depth=1
	s_or_b64 exec, exec, s[28:29]
	v_add_u32_e32 v2, v57, v56
	s_and_saveexec_b64 s[28:29], s[56:57]
	s_cbranch_execz .LBB42_53
; %bb.52:                               ;   in Loop: Header=BB42_43 Depth=1
	v_add3_u32 v12, v11, s61, v54
	v_lshlrev_b64 v[54:55], 2, v[12:13]
	v_mov_b32_e32 v12, s59
	v_add_co_u32_e64 v54, s[26:27], s58, v54
	v_addc_co_u32_e64 v55, s[26:27], v12, v55, s[26:27]
	global_load_dword v12, v[54:55], off
	v_add_u32_e32 v56, v2, v6
	v_add3_u32 v54, v8, s34, 1
	v_ashrrev_i32_e32 v57, 31, v56
	v_and_b32_e32 v54, 0xfffff1, v54
	v_lshlrev_b64 v[56:57], 2, v[56:57]
	v_lshl_or_b32 v53, v53, 24, v54
	v_mov_b32_e32 v54, s45
	v_add_co_u32_e64 v58, s[26:27], s44, v56
	v_add_u32_e32 v53, 0xff000000, v53
	v_addc_co_u32_e64 v59, s[26:27], v54, v57, s[26:27]
	global_store_dword v[58:59], v53, off
	v_mov_b32_e32 v53, s47
	v_add_co_u32_e64 v56, s[26:27], s46, v56
	v_mov_b32_e32 v55, 1
	v_addc_co_u32_e64 v57, s[26:27], v53, v57, s[26:27]
	s_waitcnt vmcnt(1)
	global_store_dword v[56:57], v12, off
.LBB42_53:                              ;   in Loop: Header=BB42_43 Depth=1
	s_or_b64 exec, exec, s[28:29]
	v_add_u32_e32 v53, v55, v2
	v_mov_b32_e32 v2, 0
	v_mov_b32_e32 v12, 0
	s_and_saveexec_b64 s[28:29], s[54:55]
	s_cbranch_execz .LBB42_55
; %bb.54:                               ;   in Loop: Header=BB42_43 Depth=1
	v_add3_u32 v12, v38, s61, v52
	v_lshlrev_b64 v[54:55], 2, v[12:13]
	v_mov_b32_e32 v12, s59
	v_add_co_u32_e64 v54, s[26:27], s58, v54
	v_addc_co_u32_e64 v55, s[26:27], v12, v55, s[26:27]
	global_load_dword v12, v[54:55], off
	v_add_u32_e32 v54, v53, v6
	v_ashrrev_i32_e32 v55, 31, v54
	v_add3_u32 v52, v8, s34, 2
	v_lshlrev_b64 v[54:55], 2, v[54:55]
	v_mov_b32_e32 v57, s45
	v_and_b32_e32 v52, 0xfffff2, v52
	v_add_co_u32_e64 v56, s[26:27], s44, v54
	v_lshl_or_b32 v51, v51, 24, v52
	v_addc_co_u32_e64 v57, s[26:27], v57, v55, s[26:27]
	v_mov_b32_e32 v58, s47
	v_add_u32_e32 v51, 0xff000000, v51
	v_add_co_u32_e64 v54, s[26:27], s46, v54
	v_addc_co_u32_e64 v55, s[26:27], v58, v55, s[26:27]
	global_store_dword v[56:57], v51, off
	s_waitcnt vmcnt(1)
	global_store_dword v[54:55], v12, off
	v_mov_b32_e32 v12, 1
.LBB42_55:                              ;   in Loop: Header=BB42_43 Depth=1
	s_or_b64 exec, exec, s[28:29]
	v_add_u32_e32 v51, v12, v53
	s_and_saveexec_b64 s[26:27], s[24:25]
	s_cbranch_execz .LBB42_57
; %bb.56:                               ;   in Loop: Header=BB42_43 Depth=1
	v_add3_u32 v12, v36, s61, v50
	v_lshlrev_b64 v[52:53], 2, v[12:13]
	v_mov_b32_e32 v2, s59
	v_add_co_u32_e64 v52, s[24:25], s58, v52
	v_addc_co_u32_e64 v53, s[24:25], v2, v53, s[24:25]
	global_load_dword v2, v[52:53], off
	v_add_u32_e32 v52, v51, v6
	v_ashrrev_i32_e32 v53, 31, v52
	v_add3_u32 v12, v8, s34, 3
	v_lshlrev_b64 v[52:53], 2, v[52:53]
	v_mov_b32_e32 v50, s45
	v_and_b32_e32 v12, 0xfffff3, v12
	v_add_co_u32_e64 v54, s[24:25], s44, v52
	v_lshl_or_b32 v12, v42, 24, v12
	v_addc_co_u32_e64 v55, s[24:25], v50, v53, s[24:25]
	v_mov_b32_e32 v56, s47
	v_add_u32_e32 v12, 0xff000000, v12
	v_add_co_u32_e64 v52, s[24:25], s46, v52
	v_addc_co_u32_e64 v53, s[24:25], v56, v53, s[24:25]
	global_store_dword v[54:55], v12, off
	s_waitcnt vmcnt(1)
	global_store_dword v[52:53], v2, off
	v_mov_b32_e32 v2, 1
.LBB42_57:                              ;   in Loop: Header=BB42_43 Depth=1
	s_or_b64 exec, exec, s[26:27]
	v_add_u32_e32 v42, v2, v51
	v_mov_b32_e32 v2, 0
	v_mov_b32_e32 v12, 0
	s_and_saveexec_b64 s[26:27], s[50:51]
	s_cbranch_execz .LBB42_59
; %bb.58:                               ;   in Loop: Header=BB42_43 Depth=1
	v_add3_u32 v12, v34, s61, v49
	v_lshlrev_b64 v[50:51], 2, v[12:13]
	v_mov_b32_e32 v12, s59
	v_add_co_u32_e64 v50, s[24:25], s58, v50
	v_addc_co_u32_e64 v51, s[24:25], v12, v51, s[24:25]
	global_load_dword v12, v[50:51], off
	v_add_u32_e32 v50, v42, v6
	v_ashrrev_i32_e32 v51, 31, v50
	v_add3_u32 v49, v8, s34, 4
	v_lshlrev_b64 v[50:51], 2, v[50:51]
	v_mov_b32_e32 v53, s45
	v_and_b32_e32 v49, 0xfffff4, v49
	v_add_co_u32_e64 v52, s[24:25], s44, v50
	v_lshl_or_b32 v49, v3, 24, v49
	v_addc_co_u32_e64 v53, s[24:25], v53, v51, s[24:25]
	v_mov_b32_e32 v54, s47
	v_add_u32_e32 v49, 0xff000000, v49
	v_add_co_u32_e64 v50, s[24:25], s46, v50
	v_addc_co_u32_e64 v51, s[24:25], v54, v51, s[24:25]
	global_store_dword v[52:53], v49, off
	s_waitcnt vmcnt(1)
	global_store_dword v[50:51], v12, off
	v_mov_b32_e32 v12, 1
.LBB42_59:                              ;   in Loop: Header=BB42_43 Depth=1
	s_or_b64 exec, exec, s[26:27]
	v_add_u32_e32 v42, v12, v42
	s_and_saveexec_b64 s[24:25], s[22:23]
	s_cbranch_execz .LBB42_61
; %bb.60:                               ;   in Loop: Header=BB42_43 Depth=1
	v_add3_u32 v12, v32, s61, v48
	v_lshlrev_b64 v[48:49], 2, v[12:13]
	v_mov_b32_e32 v2, s59
	v_add_co_u32_e64 v48, s[22:23], s58, v48
	v_addc_co_u32_e64 v49, s[22:23], v2, v49, s[22:23]
	global_load_dword v2, v[48:49], off
	v_add_u32_e32 v48, v42, v6
	v_ashrrev_i32_e32 v49, 31, v48
	v_add3_u32 v12, v8, s34, 5
	v_lshlrev_b64 v[48:49], 2, v[48:49]
	v_mov_b32_e32 v51, s45
	v_and_b32_e32 v12, 0xfffff5, v12
	v_add_co_u32_e64 v50, s[22:23], s44, v48
	v_lshl_or_b32 v12, v47, 24, v12
	v_addc_co_u32_e64 v51, s[22:23], v51, v49, s[22:23]
	v_mov_b32_e32 v52, s47
	v_add_u32_e32 v12, 0xff000000, v12
	v_add_co_u32_e64 v48, s[22:23], s46, v48
	v_addc_co_u32_e64 v49, s[22:23], v52, v49, s[22:23]
	global_store_dword v[50:51], v12, off
	s_waitcnt vmcnt(1)
	global_store_dword v[48:49], v2, off
	v_mov_b32_e32 v2, 1
.LBB42_61:                              ;   in Loop: Header=BB42_43 Depth=1
	s_or_b64 exec, exec, s[24:25]
	v_add_u32_e32 v42, v2, v42
	v_mov_b32_e32 v2, 0
	v_mov_b32_e32 v12, 0
	s_and_saveexec_b64 s[24:25], s[48:49]
	s_cbranch_execz .LBB42_63
; %bb.62:                               ;   in Loop: Header=BB42_43 Depth=1
	v_add3_u32 v12, v30, s61, v43
	v_lshlrev_b64 v[48:49], 2, v[12:13]
	v_mov_b32_e32 v12, s59
	v_add_co_u32_e64 v48, s[22:23], s58, v48
	v_addc_co_u32_e64 v49, s[22:23], v12, v49, s[22:23]
	global_load_dword v12, v[48:49], off
	v_add3_u32 v43, v8, s34, 6
	v_add_u32_e32 v48, v42, v6
	v_and_b32_e32 v43, 0xfffff6, v43
	v_ashrrev_i32_e32 v49, 31, v48
	v_lshl_or_b32 v43, v46, 24, v43
	v_lshlrev_b64 v[46:47], 2, v[48:49]
	v_mov_b32_e32 v50, s45
	v_add_co_u32_e64 v48, s[22:23], s44, v46
	v_addc_co_u32_e64 v49, s[22:23], v50, v47, s[22:23]
	v_mov_b32_e32 v51, s47
	v_add_u32_e32 v43, 0xff000000, v43
	v_add_co_u32_e64 v46, s[22:23], s46, v46
	v_addc_co_u32_e64 v47, s[22:23], v51, v47, s[22:23]
	global_store_dword v[48:49], v43, off
	s_waitcnt vmcnt(1)
	global_store_dword v[46:47], v12, off
	v_mov_b32_e32 v12, 1
.LBB42_63:                              ;   in Loop: Header=BB42_43 Depth=1
	s_or_b64 exec, exec, s[24:25]
	v_add_u32_e32 v42, v12, v42
	s_and_saveexec_b64 s[22:23], s[20:21]
	s_cbranch_execz .LBB42_65
; %bb.64:                               ;   in Loop: Header=BB42_43 Depth=1
	v_and_b32_sdwa v43, s63, v3 dst_sel:DWORD dst_unused:UNUSED_PAD src0_sel:DWORD src1_sel:BYTE_3
	v_add3_u32 v12, v28, s61, v43
	v_lshlrev_b64 v[2:3], 2, v[12:13]
	v_mov_b32_e32 v12, s59
	v_add_co_u32_e64 v2, s[20:21], s58, v2
	v_addc_co_u32_e64 v3, s[20:21], v12, v3, s[20:21]
	global_load_dword v12, v[2:3], off
	v_add3_u32 v3, v8, s34, 7
	v_add_u32_e32 v2, v42, v6
	v_and_b32_e32 v46, 0xfffff7, v3
	v_ashrrev_i32_e32 v3, 31, v2
	v_lshlrev_b64 v[2:3], 2, v[2:3]
	v_mov_b32_e32 v47, s45
	v_lshl_or_b32 v43, v43, 24, v46
	v_add_co_u32_e64 v46, s[20:21], s44, v2
	v_addc_co_u32_e64 v47, s[20:21], v47, v3, s[20:21]
	v_mov_b32_e32 v48, s47
	v_add_u32_e32 v43, 0xff000000, v43
	v_add_co_u32_e64 v2, s[20:21], s46, v2
	v_addc_co_u32_e64 v3, s[20:21], v48, v3, s[20:21]
	global_store_dword v[46:47], v43, off
	s_waitcnt vmcnt(1)
	global_store_dword v[2:3], v12, off
	v_mov_b32_e32 v2, 1
.LBB42_65:                              ;   in Loop: Header=BB42_43 Depth=1
	s_or_b64 exec, exec, s[22:23]
	v_add_u32_e32 v3, v2, v42
	v_mov_b32_e32 v2, 0
	v_mov_b32_e32 v12, 0
	s_and_saveexec_b64 s[22:23], s[42:43]
	s_cbranch_execz .LBB42_67
; %bb.66:                               ;   in Loop: Header=BB42_43 Depth=1
	v_add3_u32 v12, v26, s61, v41
	v_lshlrev_b64 v[42:43], 2, v[12:13]
	v_mov_b32_e32 v12, s59
	v_add_co_u32_e64 v42, s[20:21], s58, v42
	v_addc_co_u32_e64 v43, s[20:21], v12, v43, s[20:21]
	global_load_dword v12, v[42:43], off
	v_add_u32_e32 v42, v3, v6
	v_ashrrev_i32_e32 v43, 31, v42
	v_add3_u32 v41, v8, s34, 8
	v_lshlrev_b64 v[42:43], 2, v[42:43]
	v_mov_b32_e32 v47, s45
	v_and_b32_e32 v41, 0xfffff8, v41
	v_add_co_u32_e64 v46, s[20:21], s44, v42
	v_lshl_or_b32 v4, v4, 24, v41
	v_addc_co_u32_e64 v47, s[20:21], v47, v43, s[20:21]
	v_mov_b32_e32 v48, s47
	v_add_u32_e32 v4, 0xff000000, v4
	v_add_co_u32_e64 v42, s[20:21], s46, v42
	v_addc_co_u32_e64 v43, s[20:21], v48, v43, s[20:21]
	global_store_dword v[46:47], v4, off
	s_waitcnt vmcnt(1)
	global_store_dword v[42:43], v12, off
	v_mov_b32_e32 v12, 1
.LBB42_67:                              ;   in Loop: Header=BB42_43 Depth=1
	s_or_b64 exec, exec, s[22:23]
	v_add_u32_e32 v3, v12, v3
	s_and_saveexec_b64 s[20:21], s[18:19]
	s_cbranch_execz .LBB42_69
; %bb.68:                               ;   in Loop: Header=BB42_43 Depth=1
	v_add3_u32 v12, v24, s61, v39
	v_lshlrev_b64 v[42:43], 2, v[12:13]
	v_mov_b32_e32 v2, s59
	v_add_co_u32_e64 v42, s[18:19], s58, v42
	v_addc_co_u32_e64 v43, s[18:19], v2, v43, s[18:19]
	global_load_dword v2, v[42:43], off
	v_add_u32_e32 v42, v3, v6
	v_ashrrev_i32_e32 v43, 31, v42
	v_add3_u32 v4, v8, s34, 9
	v_lshlrev_b64 v[42:43], 2, v[42:43]
	v_mov_b32_e32 v12, s45
	v_and_b32_e32 v4, 0xfffff9, v4
	v_add_co_u32_e64 v46, s[18:19], s44, v42
	v_lshl_or_b32 v4, v37, 24, v4
	v_addc_co_u32_e64 v47, s[18:19], v12, v43, s[18:19]
	v_mov_b32_e32 v39, s47
	v_add_u32_e32 v4, 0xff000000, v4
	v_add_co_u32_e64 v42, s[18:19], s46, v42
	v_addc_co_u32_e64 v43, s[18:19], v39, v43, s[18:19]
	global_store_dword v[46:47], v4, off
	s_waitcnt vmcnt(1)
	global_store_dword v[42:43], v2, off
	v_mov_b32_e32 v2, 1
.LBB42_69:                              ;   in Loop: Header=BB42_43 Depth=1
	s_or_b64 exec, exec, s[20:21]
	v_add_u32_e32 v3, v2, v3
	v_mov_b32_e32 v2, 0
	v_mov_b32_e32 v4, 0
	s_and_saveexec_b64 s[20:21], s[40:41]
	s_cbranch_execz .LBB42_71
; %bb.70:                               ;   in Loop: Header=BB42_43 Depth=1
	v_add3_u32 v12, v22, s61, v35
	v_lshlrev_b64 v[42:43], 2, v[12:13]
	v_mov_b32_e32 v4, s59
	v_add_co_u32_e64 v42, s[18:19], s58, v42
	v_addc_co_u32_e64 v43, s[18:19], v4, v43, s[18:19]
	global_load_dword v4, v[42:43], off
	v_add_u32_e32 v42, v3, v6
	v_ashrrev_i32_e32 v43, 31, v42
	v_add3_u32 v12, v8, s34, 10
	v_lshlrev_b64 v[42:43], 2, v[42:43]
	v_mov_b32_e32 v35, s45
	v_and_b32_e32 v12, 0xfffffa, v12
	v_add_co_u32_e64 v46, s[18:19], s44, v42
	v_lshl_or_b32 v12, v33, 24, v12
	v_addc_co_u32_e64 v47, s[18:19], v35, v43, s[18:19]
	v_mov_b32_e32 v37, s47
	v_add_u32_e32 v12, 0xff000000, v12
	v_add_co_u32_e64 v42, s[18:19], s46, v42
	v_addc_co_u32_e64 v43, s[18:19], v37, v43, s[18:19]
	global_store_dword v[46:47], v12, off
	s_waitcnt vmcnt(1)
	global_store_dword v[42:43], v4, off
	v_mov_b32_e32 v4, 1
.LBB42_71:                              ;   in Loop: Header=BB42_43 Depth=1
	s_or_b64 exec, exec, s[20:21]
	v_add_u32_e32 v3, v4, v3
	s_and_saveexec_b64 s[18:19], s[16:17]
	s_cbranch_execz .LBB42_73
; %bb.72:                               ;   in Loop: Header=BB42_43 Depth=1
	v_add3_u32 v12, v20, s61, v31
	v_lshlrev_b64 v[42:43], 2, v[12:13]
	v_mov_b32_e32 v2, s59
	v_add_co_u32_e64 v42, s[16:17], s58, v42
	v_addc_co_u32_e64 v43, s[16:17], v2, v43, s[16:17]
	global_load_dword v2, v[42:43], off
	v_add3_u32 v4, v8, s34, 11
	v_add_u32_e32 v42, v3, v6
	v_and_b32_e32 v4, 0xfffffb, v4
	v_ashrrev_i32_e32 v43, 31, v42
	v_lshl_or_b32 v4, v40, 24, v4
	v_lshlrev_b64 v[40:41], 2, v[42:43]
	v_mov_b32_e32 v12, s45
	v_add_co_u32_e64 v42, s[16:17], s44, v40
	v_addc_co_u32_e64 v43, s[16:17], v12, v41, s[16:17]
	v_mov_b32_e32 v31, s47
	v_add_u32_e32 v4, 0xff000000, v4
	v_add_co_u32_e64 v40, s[16:17], s46, v40
	v_addc_co_u32_e64 v41, s[16:17], v31, v41, s[16:17]
	global_store_dword v[42:43], v4, off
	s_waitcnt vmcnt(1)
	global_store_dword v[40:41], v2, off
	v_mov_b32_e32 v2, 1
.LBB42_73:                              ;   in Loop: Header=BB42_43 Depth=1
	s_or_b64 exec, exec, s[18:19]
	v_add_u32_e32 v3, v2, v3
	v_mov_b32_e32 v2, 0
	v_mov_b32_e32 v4, 0
	s_and_saveexec_b64 s[18:19], s[38:39]
	s_cbranch_execz .LBB42_75
; %bb.74:                               ;   in Loop: Header=BB42_43 Depth=1
	v_add3_u32 v12, v18, s61, v29
	v_lshlrev_b64 v[40:41], 2, v[12:13]
	v_mov_b32_e32 v4, s59
	v_add_co_u32_e64 v40, s[16:17], s58, v40
	v_addc_co_u32_e64 v41, s[16:17], v4, v41, s[16:17]
	global_load_dword v4, v[40:41], off
	v_add_u32_e32 v40, v3, v6
	v_ashrrev_i32_e32 v41, 31, v40
	v_add3_u32 v12, v8, s34, 12
	v_lshlrev_b64 v[40:41], 2, v[40:41]
	v_mov_b32_e32 v29, s45
	v_and_b32_e32 v12, 0xfffffc, v12
	v_add_co_u32_e64 v42, s[16:17], s44, v40
	v_lshl_or_b32 v12, v5, 24, v12
	v_addc_co_u32_e64 v43, s[16:17], v29, v41, s[16:17]
	v_mov_b32_e32 v31, s47
	v_add_u32_e32 v12, 0xff000000, v12
	v_add_co_u32_e64 v40, s[16:17], s46, v40
	v_addc_co_u32_e64 v41, s[16:17], v31, v41, s[16:17]
	global_store_dword v[42:43], v12, off
	s_waitcnt vmcnt(1)
	global_store_dword v[40:41], v4, off
	v_mov_b32_e32 v4, 1
.LBB42_75:                              ;   in Loop: Header=BB42_43 Depth=1
	s_or_b64 exec, exec, s[18:19]
	v_add_u32_e32 v3, v4, v3
	s_and_saveexec_b64 s[16:17], s[14:15]
	s_cbranch_execz .LBB42_77
; %bb.76:                               ;   in Loop: Header=BB42_43 Depth=1
	v_add3_u32 v12, v16, s61, v27
	v_lshlrev_b64 v[40:41], 2, v[12:13]
	v_mov_b32_e32 v2, s59
	v_add_co_u32_e64 v40, s[14:15], s58, v40
	v_addc_co_u32_e64 v41, s[14:15], v2, v41, s[14:15]
	global_load_dword v2, v[40:41], off
	v_add_u32_e32 v40, v3, v6
	v_ashrrev_i32_e32 v41, 31, v40
	v_add3_u32 v4, v8, s34, 13
	v_lshlrev_b64 v[40:41], 2, v[40:41]
	v_mov_b32_e32 v12, s45
	v_and_b32_e32 v4, 0xfffffd, v4
	v_add_co_u32_e64 v42, s[14:15], s44, v40
	v_lshl_or_b32 v4, v23, 24, v4
	v_addc_co_u32_e64 v43, s[14:15], v12, v41, s[14:15]
	v_mov_b32_e32 v27, s47
	v_add_u32_e32 v4, 0xff000000, v4
	v_add_co_u32_e64 v40, s[14:15], s46, v40
	v_addc_co_u32_e64 v41, s[14:15], v27, v41, s[14:15]
	global_store_dword v[42:43], v4, off
	s_waitcnt vmcnt(1)
	global_store_dword v[40:41], v2, off
	v_mov_b32_e32 v2, 1
.LBB42_77:                              ;   in Loop: Header=BB42_43 Depth=1
	s_or_b64 exec, exec, s[16:17]
	v_add_u32_e32 v2, v2, v3
	v_mov_b32_e32 v3, 0
	s_and_saveexec_b64 s[16:17], s[36:37]
	s_cbranch_execz .LBB42_79
; %bb.78:                               ;   in Loop: Header=BB42_43 Depth=1
	v_add3_u32 v12, v14, s61, v25
	v_lshlrev_b64 v[40:41], 2, v[12:13]
	v_mov_b32_e32 v3, s59
	v_add_co_u32_e64 v40, s[14:15], s58, v40
	v_addc_co_u32_e64 v41, s[14:15], v3, v41, s[14:15]
	global_load_dword v3, v[40:41], off
	v_add_u32_e32 v40, v2, v6
	v_ashrrev_i32_e32 v41, 31, v40
	v_add3_u32 v4, v8, s34, 14
	v_lshlrev_b64 v[40:41], 2, v[40:41]
	v_mov_b32_e32 v12, s45
	v_and_b32_e32 v4, 0xfffffe, v4
	v_add_co_u32_e64 v42, s[14:15], s44, v40
	v_lshl_or_b32 v4, v21, 24, v4
	v_addc_co_u32_e64 v43, s[14:15], v12, v41, s[14:15]
	v_mov_b32_e32 v23, s47
	v_add_u32_e32 v4, 0xff000000, v4
	v_add_co_u32_e64 v40, s[14:15], s46, v40
	v_addc_co_u32_e64 v41, s[14:15], v23, v41, s[14:15]
	global_store_dword v[42:43], v4, off
	s_waitcnt vmcnt(1)
	global_store_dword v[40:41], v3, off
	v_mov_b32_e32 v3, 1
.LBB42_79:                              ;   in Loop: Header=BB42_43 Depth=1
	s_or_b64 exec, exec, s[16:17]
	s_and_saveexec_b64 s[14:15], s[12:13]
	s_cbranch_execz .LBB42_42
; %bb.80:                               ;   in Loop: Header=BB42_43 Depth=1
	v_and_b32_sdwa v21, s63, v5 dst_sel:DWORD dst_unused:UNUSED_PAD src0_sel:DWORD src1_sel:BYTE_3
	v_add3_u32 v12, v10, s61, v21
	v_lshlrev_b64 v[4:5], 2, v[12:13]
	v_mov_b32_e32 v12, s59
	v_add_co_u32_e64 v4, s[12:13], s58, v4
	v_addc_co_u32_e64 v5, s[12:13], v12, v5, s[12:13]
	global_load_dword v12, v[4:5], off
	v_add3_u32 v2, v2, v6, v3
	v_ashrrev_i32_e32 v3, 31, v2
	v_add_u32_e32 v4, -1, v21
	v_add3_u32 v5, v8, s34, 15
	v_lshlrev_b64 v[2:3], 2, v[2:3]
	v_perm_b32 v21, v4, v5, s64
	v_mov_b32_e32 v5, s45
	v_add_co_u32_e64 v4, s[12:13], s44, v2
	v_addc_co_u32_e64 v5, s[12:13], v5, v3, s[12:13]
	global_store_dword v[4:5], v21, off
	v_mov_b32_e32 v4, s47
	v_add_co_u32_e64 v2, s[12:13], s46, v2
	v_addc_co_u32_e64 v3, s[12:13], v4, v3, s[12:13]
	s_waitcnt vmcnt(1)
	global_store_dword v[2:3], v12, off
	s_branch .LBB42_42
.LBB42_81:
	s_waitcnt lgkmcnt(0)
	v_add_u32_e32 v1, v19, v6
	v_add_u32_e32 v2, v1, v0
	v_cmp_lt_i32_e32 vcc, v2, v7
	s_and_saveexec_b64 s[0:1], vcc
	s_cbranch_execz .LBB42_89
; %bb.82:
	v_add_u32_e32 v3, 0x100, v2
	v_max_i32_e32 v4, v7, v3
	s_and_b32 s0, s52, 0xffffff
	s_lshl_b32 s1, s30, 24
	v_xad_u32 v0, v0, -1, v4
	s_or_b32 s6, s1, s0
	v_sub_u32_e32 v0, v0, v1
	s_movk_i32 s0, 0xff
	v_cmp_lt_u32_e32 vcc, s0, v0
	s_mov_b64 s[0:1], -1
	s_and_saveexec_b64 s[2:3], vcc
	s_cbranch_execz .LBB42_86
; %bb.83:
	v_lshrrev_b32_e32 v0, 8, v0
	v_add_u32_e32 v4, 1, v0
	v_and_b32_e32 v5, 0x1fffffe, v4
	s_mov_b64 s[4:5], 0
	v_mov_b32_e32 v6, s45
	v_mov_b32_e32 v8, s6
	;; [unrolled: 1-line block ×5, first 2 shown]
	v_pk_mov_b32 v[0:1], v[2:3], v[2:3] op_sel:[0,1]
.LBB42_84:                              ; =>This Inner Loop Header: Depth=1
	v_ashrrev_i32_e32 v15, 31, v0
	v_mov_b32_e32 v14, v0
	v_lshlrev_b64 v[14:15], 2, v[14:15]
	v_ashrrev_i32_e32 v13, 31, v1
	v_mov_b32_e32 v12, v1
	v_add_co_u32_e64 v16, s[0:1], s44, v14
	v_lshlrev_b64 v[12:13], 2, v[12:13]
	v_addc_co_u32_e64 v17, s[0:1], v6, v15, s[0:1]
	v_add_co_u32_e64 v18, s[0:1], s44, v12
	v_addc_co_u32_e64 v19, s[0:1], v6, v13, s[0:1]
	v_add_u32_e32 v11, -2, v11
	v_add_co_u32_e64 v14, s[0:1], s46, v14
	v_cmp_eq_u32_e32 vcc, 0, v11
	v_addc_co_u32_e64 v15, s[0:1], v9, v15, s[0:1]
	v_add_u32_e32 v1, 0x200, v1
	v_add_u32_e32 v0, 0x200, v0
	v_add_co_u32_e64 v12, s[0:1], s46, v12
	s_or_b64 s[4:5], vcc, s[4:5]
	v_addc_co_u32_e64 v13, s[0:1], v9, v13, s[0:1]
	global_store_dword v[16:17], v8, off
	global_store_dword v[18:19], v8, off
	;; [unrolled: 1-line block ×4, first 2 shown]
	s_andn2_b64 exec, exec, s[4:5]
	s_cbranch_execnz .LBB42_84
; %bb.85:
	s_or_b64 exec, exec, s[4:5]
	v_cmp_ne_u32_e32 vcc, v4, v5
	v_lshl_add_u32 v2, v5, 8, v2
	s_orn2_b64 s[0:1], vcc, exec
.LBB42_86:
	s_or_b64 exec, exec, s[2:3]
	s_and_b64 exec, exec, s[0:1]
	s_cbranch_execz .LBB42_89
; %bb.87:
	v_ashrrev_i32_e32 v3, 31, v2
	v_lshlrev_b64 v[4:5], 2, v[2:3]
	v_mov_b32_e32 v1, s45
	v_add_co_u32_e32 v0, vcc, s44, v4
	v_addc_co_u32_e32 v1, vcc, v1, v5, vcc
	v_mov_b32_e32 v3, s47
	v_add_co_u32_e32 v4, vcc, s46, v4
	v_addc_co_u32_e32 v5, vcc, v3, v5, vcc
	s_mov_b64 s[2:3], 0
	v_mov_b32_e32 v3, s6
	v_mov_b32_e32 v6, 0
.LBB42_88:                              ; =>This Inner Loop Header: Depth=1
	global_store_dword v[0:1], v3, off
	global_store_dword v[4:5], v6, off
	v_add_co_u32_e32 v0, vcc, 0x400, v0
	v_add_u32_e32 v2, 0x100, v2
	v_addc_co_u32_e32 v1, vcc, 0, v1, vcc
	v_add_co_u32_e32 v4, vcc, 0x400, v4
	v_cmp_ge_i32_e64 s[0:1], v2, v7
	s_or_b64 s[2:3], s[0:1], s[2:3]
	v_addc_co_u32_e32 v5, vcc, 0, v5, vcc
	s_andn2_b64 exec, exec, s[2:3]
	s_cbranch_execnz .LBB42_88
.LBB42_89:
	s_endpgm
	.section	.rodata,"a",@progbits
	.p2align	6, 0x0
	.amdhsa_kernel _ZN5aiter22opus_moe_sorting_entryINS_30MoeSortingMultiPhaseKernel_P23INS_19MoeSortingProblemMpIifhLi16ELb0ELb0ELb1EEEEENS4_5KargsEEEvT0_
		.amdhsa_group_segment_fixed_size 0
		.amdhsa_private_segment_fixed_size 0
		.amdhsa_kernarg_size 400
		.amdhsa_user_sgpr_count 6
		.amdhsa_user_sgpr_private_segment_buffer 1
		.amdhsa_user_sgpr_dispatch_ptr 0
		.amdhsa_user_sgpr_queue_ptr 0
		.amdhsa_user_sgpr_kernarg_segment_ptr 1
		.amdhsa_user_sgpr_dispatch_id 0
		.amdhsa_user_sgpr_flat_scratch_init 0
		.amdhsa_user_sgpr_kernarg_preload_length 0
		.amdhsa_user_sgpr_kernarg_preload_offset 0
		.amdhsa_user_sgpr_private_segment_size 0
		.amdhsa_uses_dynamic_stack 0
		.amdhsa_system_sgpr_private_segment_wavefront_offset 0
		.amdhsa_system_sgpr_workgroup_id_x 1
		.amdhsa_system_sgpr_workgroup_id_y 0
		.amdhsa_system_sgpr_workgroup_id_z 0
		.amdhsa_system_sgpr_workgroup_info 0
		.amdhsa_system_vgpr_workitem_id 0
		.amdhsa_next_free_vgpr 63
		.amdhsa_next_free_sgpr 65
		.amdhsa_accum_offset 64
		.amdhsa_reserve_vcc 1
		.amdhsa_reserve_flat_scratch 0
		.amdhsa_float_round_mode_32 0
		.amdhsa_float_round_mode_16_64 0
		.amdhsa_float_denorm_mode_32 3
		.amdhsa_float_denorm_mode_16_64 3
		.amdhsa_dx10_clamp 1
		.amdhsa_ieee_mode 1
		.amdhsa_fp16_overflow 0
		.amdhsa_tg_split 0
		.amdhsa_exception_fp_ieee_invalid_op 0
		.amdhsa_exception_fp_denorm_src 0
		.amdhsa_exception_fp_ieee_div_zero 0
		.amdhsa_exception_fp_ieee_overflow 0
		.amdhsa_exception_fp_ieee_underflow 0
		.amdhsa_exception_fp_ieee_inexact 0
		.amdhsa_exception_int_div_zero 0
	.end_amdhsa_kernel
	.section	.text._ZN5aiter22opus_moe_sorting_entryINS_30MoeSortingMultiPhaseKernel_P23INS_19MoeSortingProblemMpIifhLi16ELb0ELb0ELb1EEEEENS4_5KargsEEEvT0_,"axG",@progbits,_ZN5aiter22opus_moe_sorting_entryINS_30MoeSortingMultiPhaseKernel_P23INS_19MoeSortingProblemMpIifhLi16ELb0ELb0ELb1EEEEENS4_5KargsEEEvT0_,comdat
.Lfunc_end42:
	.size	_ZN5aiter22opus_moe_sorting_entryINS_30MoeSortingMultiPhaseKernel_P23INS_19MoeSortingProblemMpIifhLi16ELb0ELb0ELb1EEEEENS4_5KargsEEEvT0_, .Lfunc_end42-_ZN5aiter22opus_moe_sorting_entryINS_30MoeSortingMultiPhaseKernel_P23INS_19MoeSortingProblemMpIifhLi16ELb0ELb0ELb1EEEEENS4_5KargsEEEvT0_
                                        ; -- End function
	.section	.AMDGPU.csdata,"",@progbits
; Kernel info:
; codeLenInByte = 6060
; NumSgprs: 69
; NumVgprs: 63
; NumAgprs: 0
; TotalNumVgprs: 63
; ScratchSize: 0
; MemoryBound: 0
; FloatMode: 240
; IeeeMode: 1
; LDSByteSize: 0 bytes/workgroup (compile time only)
; SGPRBlocks: 8
; VGPRBlocks: 7
; NumSGPRsForWavesPerEU: 69
; NumVGPRsForWavesPerEU: 63
; AccumOffset: 64
; Occupancy: 8
; WaveLimiterHint : 0
; COMPUTE_PGM_RSRC2:SCRATCH_EN: 0
; COMPUTE_PGM_RSRC2:USER_SGPR: 6
; COMPUTE_PGM_RSRC2:TRAP_HANDLER: 0
; COMPUTE_PGM_RSRC2:TGID_X_EN: 1
; COMPUTE_PGM_RSRC2:TGID_Y_EN: 0
; COMPUTE_PGM_RSRC2:TGID_Z_EN: 0
; COMPUTE_PGM_RSRC2:TIDIG_COMP_CNT: 0
; COMPUTE_PGM_RSRC3_GFX90A:ACCUM_OFFSET: 15
; COMPUTE_PGM_RSRC3_GFX90A:TG_SPLIT: 0
	.section	.text._ZN5aiter22opus_moe_sorting_entryINS_32MoeSortingMultiPhaseKernel_P0_v2INS_19MoeSortingProblemMpIifhLi1ELb1ELb1ELb1EEEEENS4_5KargsEEEvT0_,"axG",@progbits,_ZN5aiter22opus_moe_sorting_entryINS_32MoeSortingMultiPhaseKernel_P0_v2INS_19MoeSortingProblemMpIifhLi1ELb1ELb1ELb1EEEEENS4_5KargsEEEvT0_,comdat
	.protected	_ZN5aiter22opus_moe_sorting_entryINS_32MoeSortingMultiPhaseKernel_P0_v2INS_19MoeSortingProblemMpIifhLi1ELb1ELb1ELb1EEEEENS4_5KargsEEEvT0_ ; -- Begin function _ZN5aiter22opus_moe_sorting_entryINS_32MoeSortingMultiPhaseKernel_P0_v2INS_19MoeSortingProblemMpIifhLi1ELb1ELb1ELb1EEEEENS4_5KargsEEEvT0_
	.globl	_ZN5aiter22opus_moe_sorting_entryINS_32MoeSortingMultiPhaseKernel_P0_v2INS_19MoeSortingProblemMpIifhLi1ELb1ELb1ELb1EEEEENS4_5KargsEEEvT0_
	.p2align	8
	.type	_ZN5aiter22opus_moe_sorting_entryINS_32MoeSortingMultiPhaseKernel_P0_v2INS_19MoeSortingProblemMpIifhLi1ELb1ELb1ELb1EEEEENS4_5KargsEEEvT0_,@function
_ZN5aiter22opus_moe_sorting_entryINS_32MoeSortingMultiPhaseKernel_P0_v2INS_19MoeSortingProblemMpIifhLi1ELb1ELb1ELb1EEEEENS4_5KargsEEEvT0_: ; @_ZN5aiter22opus_moe_sorting_entryINS_32MoeSortingMultiPhaseKernel_P0_v2INS_19MoeSortingProblemMpIifhLi1ELb1ELb1ELb1EEEEENS4_5KargsEEEvT0_
; %bb.0:
	s_load_dwordx4 s[16:19], s[4:5], 0x0
	s_load_dwordx2 s[0:1], s[4:5], 0x10
	s_ashr_i32 s7, s6, 31
	s_lshl_b64 s[2:3], s[6:7], 2
	s_waitcnt lgkmcnt(0)
	s_load_dword s20, s[18:19], 0x0
	s_load_dwordx8 s[8:15], s[4:5], 0x20
	s_waitcnt lgkmcnt(0)
	s_add_i32 s4, s20, 31
	s_ashr_i32 s5, s4, 31
	s_lshr_b32 s5, s5, 27
	s_add_i32 s7, s4, s5
	s_andn2_b32 s7, s7, 31
	s_add_u32 s4, s12, s2
	s_addc_u32 s5, s13, s3
	s_load_dword s11, s[4:5], 0x0
	s_mul_i32 s4, s7, s6
	s_ashr_i32 s5, s4, 31
	s_add_u32 s4, s0, s4
	s_addc_u32 s5, s1, s5
	v_cmp_gt_i32_e32 vcc, s7, v0
	s_and_saveexec_b64 s[12:13], vcc
	s_cbranch_execz .LBB43_8
; %bb.1:
	v_xad_u32 v1, v0, -1, s7
	s_movk_i32 s0, 0xdff
	v_cmp_lt_u32_e32 vcc, s0, v1
	s_mov_b64 s[18:19], -1
	v_mov_b32_e32 v2, v0
	s_and_saveexec_b64 s[0:1], vcc
	s_cbranch_execz .LBB43_5
; %bb.2:
	v_lshrrev_b32_e32 v1, 9, v1
	v_add_u32_e32 v10, 1, v1
	v_add_u32_e32 v7, 0xe00, v0
	v_or_b32_e32 v6, 0xc00, v0
	v_add_u32_e32 v5, 0xa00, v0
	v_or_b32_e32 v4, 0x800, v0
	;; [unrolled: 2-line block ×3, first 2 shown]
	v_and_b32_e32 v11, 0xfffff8, v10
	v_add_u32_e32 v1, 0x200, v0
	v_pk_mov_b32 v[8:9], v[6:7], v[6:7] op_sel:[0,1]
	s_mov_b64 s[18:19], 0
	v_mov_b32_e32 v12, s5
	v_mov_b32_e32 v13, 0
	;; [unrolled: 1-line block ×3, first 2 shown]
	v_pk_mov_b32 v[6:7], v[4:5], v[4:5] op_sel:[0,1]
	v_pk_mov_b32 v[4:5], v[2:3], v[2:3] op_sel:[0,1]
	;; [unrolled: 1-line block ×3, first 2 shown]
.LBB43_3:                               ; =>This Inner Loop Header: Depth=1
	v_add_co_u32_e32 v16, vcc, s4, v2
	v_addc_co_u32_e32 v17, vcc, 0, v12, vcc
	v_add_co_u32_e32 v18, vcc, s4, v3
	v_addc_co_u32_e32 v19, vcc, 0, v12, vcc
	;; [unrolled: 2-line block ×8, first 2 shown]
	v_add_u32_e32 v14, -8, v14
	v_cmp_eq_u32_e32 vcc, 0, v14
	v_add_u32_e32 v9, 0x1000, v9
	v_add_u32_e32 v8, 0x1000, v8
	;; [unrolled: 1-line block ×8, first 2 shown]
	s_or_b64 s[18:19], vcc, s[18:19]
	global_store_byte v[16:17], v13, off
	global_store_byte v[18:19], v13, off
	;; [unrolled: 1-line block ×8, first 2 shown]
	s_andn2_b64 exec, exec, s[18:19]
	s_cbranch_execnz .LBB43_3
; %bb.4:
	s_or_b64 exec, exec, s[18:19]
	v_cmp_ne_u32_e32 vcc, v10, v11
	v_lshl_or_b32 v2, v11, 9, v0
	s_orn2_b64 s[18:19], vcc, exec
.LBB43_5:
	s_or_b64 exec, exec, s[0:1]
	s_and_b64 exec, exec, s[18:19]
	s_cbranch_execz .LBB43_8
; %bb.6:
	v_mov_b32_e32 v3, 0
	s_mov_b64 s[18:19], 0
	v_mov_b32_e32 v1, s5
	v_pk_mov_b32 v[4:5], v[2:3], v[2:3] op_sel:[0,1]
.LBB43_7:                               ; =>This Inner Loop Header: Depth=1
	v_add_co_u32_e32 v6, vcc, s4, v4
	v_addc_co_u32_e32 v7, vcc, v1, v5, vcc
	v_add_co_u32_e32 v4, vcc, 0x200, v4
	v_cmp_le_i32_e64 s[0:1], s7, v4
	s_or_b64 s[18:19], s[0:1], s[18:19]
	v_addc_co_u32_e32 v5, vcc, 0, v5, vcc
	global_store_byte v[6:7], v3, off
	s_andn2_b64 exec, exec, s[18:19]
	s_cbranch_execnz .LBB43_7
.LBB43_8:
	s_or_b64 exec, exec, s[12:13]
	s_mul_i32 s18, s20, s8
	v_cmp_gt_i32_e32 vcc, s18, v0
	s_waitcnt lgkmcnt(0)
	s_barrier
	s_and_saveexec_b64 s[12:13], vcc
	s_cbranch_execz .LBB43_13
; %bb.9:
	s_mov_b32 s1, 0
	s_mov_b32 s0, s9
	s_sub_i32 s19, 0, s8
	v_mad_u64_u32 v[2:3], s[8:9], v0, s9, 0
	v_lshlrev_b32_e32 v1, 2, v0
	s_lshl_b64 s[8:9], s[0:1], 9
	v_mov_b32_e32 v5, s17
	v_add_co_u32_e32 v4, vcc, s16, v1
	v_addc_co_u32_e32 v5, vcc, 0, v5, vcc
	s_mov_b64 s[16:17], 0
	v_mov_b32_e32 v1, s9
	v_mov_b32_e32 v6, v0
	s_branch .LBB43_11
.LBB43_10:                              ;   in Loop: Header=BB43_11 Depth=1
	s_or_b64 exec, exec, s[0:1]
	v_add_co_u32_e32 v2, vcc, s8, v2
	v_add_u32_e32 v6, 0x200, v6
	v_addc_co_u32_e32 v3, vcc, v3, v1, vcc
	v_add_co_u32_e32 v4, vcc, 0x800, v4
	v_cmp_le_i32_e64 s[0:1], s18, v6
	s_or_b64 s[16:17], s[0:1], s[16:17]
	v_addc_co_u32_e32 v5, vcc, 0, v5, vcc
	s_andn2_b64 exec, exec, s[16:17]
	s_cbranch_execz .LBB43_13
.LBB43_11:                              ; =>This Inner Loop Header: Depth=1
	global_load_dword v8, v[4:5], off
	v_add_u32_e32 v7, v6, v3
	v_lshrrev_b32_e32 v7, s10, v7
	v_cmp_gt_i32_e64 s[0:1], s20, v7
	s_waitcnt vmcnt(0)
	v_cmp_eq_u32_e32 vcc, s6, v8
	s_and_b64 s[22:23], vcc, s[0:1]
	s_and_saveexec_b64 s[0:1], s[22:23]
	s_cbranch_execz .LBB43_10
; %bb.12:                               ;   in Loop: Header=BB43_11 Depth=1
	v_mad_u64_u32 v[8:9], s[22:23], s19, v7, v[6:7]
	v_add_u16_e32 v8, 1, v8
	global_store_byte v7, v8, s[4:5]
	s_branch .LBB43_10
.LBB43_13:
	s_or_b64 exec, exec, s[12:13]
	s_cmp_eq_u32 s11, 0
	s_barrier
	s_cbranch_scc1 .LBB43_24
; %bb.14:
	s_cmp_lt_i32 s20, 1
	s_cbranch_scc1 .LBB43_19
; %bb.15:
	s_add_i32 s0, s7, 0x1ff
	s_ashr_i32 s1, s0, 31
	v_mbcnt_lo_u32_b32 v1, -1, 0
	s_lshr_b32 s1, s1, 23
	v_mbcnt_hi_u32_b32 v1, -1, v1
	s_add_i32 s0, s0, s1
	v_lshlrev_b32_e32 v1, 2, v1
	s_ashr_i32 s0, s0, 9
	v_xor_b32_e32 v5, 4, v1
	v_xor_b32_e32 v6, 8, v1
	;; [unrolled: 1-line block ×6, first 2 shown]
	v_mov_b32_e32 v1, 0
	v_mov_b32_e32 v4, 0
	s_max_i32 s6, s0, 1
	v_pk_mov_b32 v[2:3], v[0:1], v[0:1] op_sel:[0,1]
	s_branch .LBB43_17
.LBB43_16:                              ;   in Loop: Header=BB43_17 Depth=1
	s_or_b64 exec, exec, s[0:1]
	s_waitcnt vmcnt(0)
	v_cmp_ne_u16_e32 vcc, 0, v1
	v_cndmask_b32_e64 v1, 0, 1, vcc
	ds_bpermute_b32 v1, v5, v1
	s_add_i32 s6, s6, -1
	s_cmp_eq_u32 s6, 0
	s_waitcnt lgkmcnt(0)
	v_addc_co_u32_e64 v11, s[0:1], 0, v1, vcc
	ds_bpermute_b32 v11, v6, v11
	s_waitcnt lgkmcnt(0)
	v_addc_co_u32_e32 v1, vcc, v11, v1, vcc
	ds_bpermute_b32 v11, v7, v1
	v_add_co_u32_e32 v2, vcc, 0x200, v2
	v_addc_co_u32_e32 v3, vcc, 0, v3, vcc
	s_waitcnt lgkmcnt(0)
	v_add_u32_e32 v1, v1, v11
	ds_bpermute_b32 v11, v8, v1
	s_waitcnt lgkmcnt(0)
	v_add_u32_e32 v1, v1, v11
	ds_bpermute_b32 v11, v9, v1
	;; [unrolled: 3-line block ×3, first 2 shown]
	s_waitcnt lgkmcnt(0)
	v_add3_u32 v4, v11, v4, v1
	s_cbranch_scc1 .LBB43_20
.LBB43_17:                              ; =>This Inner Loop Header: Depth=1
	v_cmp_gt_i32_e32 vcc, s7, v2
	v_mov_b32_e32 v1, 0
	s_and_saveexec_b64 s[0:1], vcc
	s_cbranch_execz .LBB43_16
; %bb.18:                               ;   in Loop: Header=BB43_17 Depth=1
	v_mov_b32_e32 v1, s5
	v_add_co_u32_e32 v12, vcc, s4, v2
	v_addc_co_u32_e32 v13, vcc, v1, v3, vcc
	global_load_ubyte v1, v[12:13], off
	s_branch .LBB43_16
.LBB43_19:
	v_mov_b32_e32 v4, 0
.LBB43_20:
	v_and_b32_e32 v1, 63, v0
	v_cmp_eq_u32_e32 vcc, 0, v1
	s_and_saveexec_b64 s[0:1], vcc
	s_cbranch_execz .LBB43_22
; %bb.21:
	v_lshrrev_b32_e32 v1, 4, v0
	v_and_b32_e32 v1, 60, v1
	ds_write_b32 v1, v4
.LBB43_22:
	s_or_b64 exec, exec, s[0:1]
	v_cmp_eq_u32_e32 vcc, 0, v0
	s_waitcnt lgkmcnt(0)
	s_barrier
	s_and_saveexec_b64 s[0:1], vcc
	s_cbranch_execz .LBB43_24
; %bb.23:
	v_mov_b32_e32 v8, 0
	ds_read_b128 v[0:3], v8
	ds_read_b128 v[4:7], v8 offset:16
	s_add_u32 s0, s14, s2
	s_addc_u32 s1, s15, s3
	s_waitcnt lgkmcnt(1)
	v_add_u32_e32 v0, v1, v0
	v_add_u32_e32 v0, v0, v2
	;; [unrolled: 1-line block ×3, first 2 shown]
	s_waitcnt lgkmcnt(0)
	v_add_u32_e32 v0, v0, v4
	v_add_u32_e32 v0, v0, v5
	;; [unrolled: 1-line block ×4, first 2 shown]
	global_store_dword v8, v0, s[0:1]
.LBB43_24:
	s_endpgm
	.section	.rodata,"a",@progbits
	.p2align	6, 0x0
	.amdhsa_kernel _ZN5aiter22opus_moe_sorting_entryINS_32MoeSortingMultiPhaseKernel_P0_v2INS_19MoeSortingProblemMpIifhLi1ELb1ELb1ELb1EEEEENS4_5KargsEEEvT0_
		.amdhsa_group_segment_fixed_size 32
		.amdhsa_private_segment_fixed_size 0
		.amdhsa_kernarg_size 72
		.amdhsa_user_sgpr_count 6
		.amdhsa_user_sgpr_private_segment_buffer 1
		.amdhsa_user_sgpr_dispatch_ptr 0
		.amdhsa_user_sgpr_queue_ptr 0
		.amdhsa_user_sgpr_kernarg_segment_ptr 1
		.amdhsa_user_sgpr_dispatch_id 0
		.amdhsa_user_sgpr_flat_scratch_init 0
		.amdhsa_user_sgpr_kernarg_preload_length 0
		.amdhsa_user_sgpr_kernarg_preload_offset 0
		.amdhsa_user_sgpr_private_segment_size 0
		.amdhsa_uses_dynamic_stack 0
		.amdhsa_system_sgpr_private_segment_wavefront_offset 0
		.amdhsa_system_sgpr_workgroup_id_x 1
		.amdhsa_system_sgpr_workgroup_id_y 0
		.amdhsa_system_sgpr_workgroup_id_z 0
		.amdhsa_system_sgpr_workgroup_info 0
		.amdhsa_system_vgpr_workitem_id 0
		.amdhsa_next_free_vgpr 32
		.amdhsa_next_free_sgpr 24
		.amdhsa_accum_offset 32
		.amdhsa_reserve_vcc 1
		.amdhsa_reserve_flat_scratch 0
		.amdhsa_float_round_mode_32 0
		.amdhsa_float_round_mode_16_64 0
		.amdhsa_float_denorm_mode_32 3
		.amdhsa_float_denorm_mode_16_64 3
		.amdhsa_dx10_clamp 1
		.amdhsa_ieee_mode 1
		.amdhsa_fp16_overflow 0
		.amdhsa_tg_split 0
		.amdhsa_exception_fp_ieee_invalid_op 0
		.amdhsa_exception_fp_denorm_src 0
		.amdhsa_exception_fp_ieee_div_zero 0
		.amdhsa_exception_fp_ieee_overflow 0
		.amdhsa_exception_fp_ieee_underflow 0
		.amdhsa_exception_fp_ieee_inexact 0
		.amdhsa_exception_int_div_zero 0
	.end_amdhsa_kernel
	.section	.text._ZN5aiter22opus_moe_sorting_entryINS_32MoeSortingMultiPhaseKernel_P0_v2INS_19MoeSortingProblemMpIifhLi1ELb1ELb1ELb1EEEEENS4_5KargsEEEvT0_,"axG",@progbits,_ZN5aiter22opus_moe_sorting_entryINS_32MoeSortingMultiPhaseKernel_P0_v2INS_19MoeSortingProblemMpIifhLi1ELb1ELb1ELb1EEEEENS4_5KargsEEEvT0_,comdat
.Lfunc_end43:
	.size	_ZN5aiter22opus_moe_sorting_entryINS_32MoeSortingMultiPhaseKernel_P0_v2INS_19MoeSortingProblemMpIifhLi1ELb1ELb1ELb1EEEEENS4_5KargsEEEvT0_, .Lfunc_end43-_ZN5aiter22opus_moe_sorting_entryINS_32MoeSortingMultiPhaseKernel_P0_v2INS_19MoeSortingProblemMpIifhLi1ELb1ELb1ELb1EEEEENS4_5KargsEEEvT0_
                                        ; -- End function
	.section	.AMDGPU.csdata,"",@progbits
; Kernel info:
; codeLenInByte = 1224
; NumSgprs: 28
; NumVgprs: 32
; NumAgprs: 0
; TotalNumVgprs: 32
; ScratchSize: 0
; MemoryBound: 0
; FloatMode: 240
; IeeeMode: 1
; LDSByteSize: 32 bytes/workgroup (compile time only)
; SGPRBlocks: 3
; VGPRBlocks: 3
; NumSGPRsForWavesPerEU: 28
; NumVGPRsForWavesPerEU: 32
; AccumOffset: 32
; Occupancy: 8
; WaveLimiterHint : 1
; COMPUTE_PGM_RSRC2:SCRATCH_EN: 0
; COMPUTE_PGM_RSRC2:USER_SGPR: 6
; COMPUTE_PGM_RSRC2:TRAP_HANDLER: 0
; COMPUTE_PGM_RSRC2:TGID_X_EN: 1
; COMPUTE_PGM_RSRC2:TGID_Y_EN: 0
; COMPUTE_PGM_RSRC2:TGID_Z_EN: 0
; COMPUTE_PGM_RSRC2:TIDIG_COMP_CNT: 0
; COMPUTE_PGM_RSRC3_GFX90A:ACCUM_OFFSET: 7
; COMPUTE_PGM_RSRC3_GFX90A:TG_SPLIT: 0
	.section	.text._ZN5aiter22opus_moe_sorting_entryINS_32MoeSortingMultiPhaseKernel_P0_v2INS_19MoeSortingProblemMpIifhLi1ELb1ELb0ELb1EEEEENS4_5KargsEEEvT0_,"axG",@progbits,_ZN5aiter22opus_moe_sorting_entryINS_32MoeSortingMultiPhaseKernel_P0_v2INS_19MoeSortingProblemMpIifhLi1ELb1ELb0ELb1EEEEENS4_5KargsEEEvT0_,comdat
	.protected	_ZN5aiter22opus_moe_sorting_entryINS_32MoeSortingMultiPhaseKernel_P0_v2INS_19MoeSortingProblemMpIifhLi1ELb1ELb0ELb1EEEEENS4_5KargsEEEvT0_ ; -- Begin function _ZN5aiter22opus_moe_sorting_entryINS_32MoeSortingMultiPhaseKernel_P0_v2INS_19MoeSortingProblemMpIifhLi1ELb1ELb0ELb1EEEEENS4_5KargsEEEvT0_
	.globl	_ZN5aiter22opus_moe_sorting_entryINS_32MoeSortingMultiPhaseKernel_P0_v2INS_19MoeSortingProblemMpIifhLi1ELb1ELb0ELb1EEEEENS4_5KargsEEEvT0_
	.p2align	8
	.type	_ZN5aiter22opus_moe_sorting_entryINS_32MoeSortingMultiPhaseKernel_P0_v2INS_19MoeSortingProblemMpIifhLi1ELb1ELb0ELb1EEEEENS4_5KargsEEEvT0_,@function
_ZN5aiter22opus_moe_sorting_entryINS_32MoeSortingMultiPhaseKernel_P0_v2INS_19MoeSortingProblemMpIifhLi1ELb1ELb0ELb1EEEEENS4_5KargsEEEvT0_: ; @_ZN5aiter22opus_moe_sorting_entryINS_32MoeSortingMultiPhaseKernel_P0_v2INS_19MoeSortingProblemMpIifhLi1ELb1ELb0ELb1EEEEENS4_5KargsEEEvT0_
; %bb.0:
	s_load_dwordx4 s[8:11], s[4:5], 0x18
	s_load_dwordx2 s[0:1], s[4:5], 0x10
	s_load_dword s7, s[4:5], 0x28
	s_waitcnt lgkmcnt(0)
	s_mul_i32 s2, s9, s6
	s_ashr_i32 s3, s2, 31
	s_add_u32 s2, s0, s2
	s_addc_u32 s3, s1, s3
	v_cmp_gt_i32_e32 vcc, s9, v0
	s_and_saveexec_b64 s[12:13], vcc
	s_cbranch_execz .LBB44_8
; %bb.1:
	v_xad_u32 v1, v0, -1, s9
	s_movk_i32 s0, 0xdff
	v_cmp_lt_u32_e32 vcc, s0, v1
	s_mov_b64 s[14:15], -1
	v_mov_b32_e32 v2, v0
	s_and_saveexec_b64 s[0:1], vcc
	s_cbranch_execz .LBB44_5
; %bb.2:
	v_lshrrev_b32_e32 v1, 9, v1
	v_add_u32_e32 v10, 1, v1
	v_add_u32_e32 v7, 0xe00, v0
	v_or_b32_e32 v6, 0xc00, v0
	v_add_u32_e32 v5, 0xa00, v0
	v_or_b32_e32 v4, 0x800, v0
	;; [unrolled: 2-line block ×3, first 2 shown]
	v_and_b32_e32 v11, 0xfffff8, v10
	v_add_u32_e32 v1, 0x200, v0
	v_pk_mov_b32 v[8:9], v[6:7], v[6:7] op_sel:[0,1]
	s_mov_b64 s[14:15], 0
	v_mov_b32_e32 v12, s3
	v_mov_b32_e32 v13, 0
	;; [unrolled: 1-line block ×3, first 2 shown]
	v_pk_mov_b32 v[6:7], v[4:5], v[4:5] op_sel:[0,1]
	v_pk_mov_b32 v[4:5], v[2:3], v[2:3] op_sel:[0,1]
	;; [unrolled: 1-line block ×3, first 2 shown]
.LBB44_3:                               ; =>This Inner Loop Header: Depth=1
	v_add_co_u32_e32 v16, vcc, s2, v2
	v_addc_co_u32_e32 v17, vcc, 0, v12, vcc
	v_add_co_u32_e32 v18, vcc, s2, v3
	v_addc_co_u32_e32 v19, vcc, 0, v12, vcc
	;; [unrolled: 2-line block ×8, first 2 shown]
	v_add_u32_e32 v14, -8, v14
	v_cmp_eq_u32_e32 vcc, 0, v14
	v_add_u32_e32 v9, 0x1000, v9
	v_add_u32_e32 v8, 0x1000, v8
	v_add_u32_e32 v7, 0x1000, v7
	v_add_u32_e32 v6, 0x1000, v6
	v_add_u32_e32 v5, 0x1000, v5
	v_add_u32_e32 v4, 0x1000, v4
	v_add_u32_e32 v3, 0x1000, v3
	v_add_u32_e32 v2, 0x1000, v2
	s_or_b64 s[14:15], vcc, s[14:15]
	global_store_byte v[16:17], v13, off
	global_store_byte v[18:19], v13, off
	;; [unrolled: 1-line block ×8, first 2 shown]
	s_andn2_b64 exec, exec, s[14:15]
	s_cbranch_execnz .LBB44_3
; %bb.4:
	s_or_b64 exec, exec, s[14:15]
	v_cmp_ne_u32_e32 vcc, v10, v11
	v_lshl_or_b32 v2, v11, 9, v0
	s_orn2_b64 s[14:15], vcc, exec
.LBB44_5:
	s_or_b64 exec, exec, s[0:1]
	s_and_b64 exec, exec, s[14:15]
	s_cbranch_execz .LBB44_8
; %bb.6:
	v_mov_b32_e32 v3, 0
	s_mov_b64 s[14:15], 0
	v_mov_b32_e32 v1, s3
	v_pk_mov_b32 v[4:5], v[2:3], v[2:3] op_sel:[0,1]
.LBB44_7:                               ; =>This Inner Loop Header: Depth=1
	v_add_co_u32_e32 v6, vcc, s2, v4
	v_addc_co_u32_e32 v7, vcc, v1, v5, vcc
	v_add_co_u32_e32 v4, vcc, 0x200, v4
	v_cmp_le_i32_e64 s[0:1], s9, v4
	s_or_b64 s[14:15], s[0:1], s[14:15]
	v_addc_co_u32_e32 v5, vcc, 0, v5, vcc
	global_store_byte v[6:7], v3, off
	s_andn2_b64 exec, exec, s[14:15]
	s_cbranch_execnz .LBB44_7
.LBB44_8:
	s_or_b64 exec, exec, s[12:13]
	s_load_dwordx2 s[12:13], s[4:5], 0x38
	s_mul_i32 s8, s10, s8
	v_cmp_gt_i32_e32 vcc, s8, v0
	s_waitcnt lgkmcnt(0)
	s_barrier
	s_and_saveexec_b64 s[14:15], vcc
	s_cbranch_execz .LBB44_13
; %bb.9:
	s_load_dwordx2 s[0:1], s[4:5], 0x0
	s_mov_b32 s5, 0
	s_mov_b32 s4, s11
	v_lshlrev_b32_e32 v1, 2, v0
	s_sub_i32 s16, 0, s10
	v_mad_u64_u32 v[2:3], s[10:11], v0, s11, 0
	s_lshl_b64 s[4:5], s[4:5], 9
	s_waitcnt lgkmcnt(0)
	v_mov_b32_e32 v5, s1
	v_add_co_u32_e32 v4, vcc, s0, v1
	v_addc_co_u32_e32 v5, vcc, 0, v5, vcc
	s_mov_b64 s[10:11], 0
	v_mov_b32_e32 v1, s5
	v_mov_b32_e32 v6, v0
	s_branch .LBB44_11
.LBB44_10:                              ;   in Loop: Header=BB44_11 Depth=1
	s_or_b64 exec, exec, s[0:1]
	v_add_co_u32_e32 v2, vcc, s4, v2
	v_add_u32_e32 v6, 0x200, v6
	v_addc_co_u32_e32 v3, vcc, v3, v1, vcc
	v_add_co_u32_e32 v4, vcc, 0x800, v4
	v_cmp_le_i32_e64 s[0:1], s8, v6
	s_or_b64 s[10:11], s[0:1], s[10:11]
	v_addc_co_u32_e32 v5, vcc, 0, v5, vcc
	s_andn2_b64 exec, exec, s[10:11]
	s_cbranch_execz .LBB44_13
.LBB44_11:                              ; =>This Inner Loop Header: Depth=1
	global_load_dword v7, v[4:5], off
	s_waitcnt vmcnt(0)
	v_cmp_eq_u32_e32 vcc, s6, v7
	s_and_saveexec_b64 s[0:1], vcc
	s_cbranch_execz .LBB44_10
; %bb.12:                               ;   in Loop: Header=BB44_11 Depth=1
	v_add_u32_e32 v7, v6, v3
	v_lshrrev_b32_e32 v7, s7, v7
	v_mad_u64_u32 v[8:9], s[18:19], s16, v7, v[6:7]
	v_add_u16_e32 v8, 1, v8
	global_store_byte v7, v8, s[2:3]
	s_branch .LBB44_10
.LBB44_13:
	s_or_b64 exec, exec, s[14:15]
	s_cmp_lt_i32 s9, 1
	s_barrier
	s_cbranch_scc1 .LBB44_18
; %bb.14:
	v_mbcnt_lo_u32_b32 v1, -1, 0
	v_mbcnt_hi_u32_b32 v1, -1, v1
	v_lshlrev_b32_e32 v1, 2, v1
	s_add_i32 s0, s9, 0x1ff
	v_xor_b32_e32 v5, 4, v1
	v_xor_b32_e32 v6, 8, v1
	;; [unrolled: 1-line block ×6, first 2 shown]
	v_mov_b32_e32 v1, 0
	s_lshr_b32 s4, s0, 9
	v_mov_b32_e32 v4, 0
	v_pk_mov_b32 v[2:3], v[0:1], v[0:1] op_sel:[0,1]
	s_branch .LBB44_16
.LBB44_15:                              ;   in Loop: Header=BB44_16 Depth=1
	s_or_b64 exec, exec, s[0:1]
	s_waitcnt vmcnt(0)
	v_cmp_ne_u16_e32 vcc, 0, v1
	v_cndmask_b32_e64 v1, 0, 1, vcc
	ds_bpermute_b32 v1, v5, v1
	s_add_i32 s4, s4, -1
	s_cmp_eq_u32 s4, 0
	s_waitcnt lgkmcnt(0)
	v_addc_co_u32_e64 v11, s[0:1], 0, v1, vcc
	ds_bpermute_b32 v11, v6, v11
	s_waitcnt lgkmcnt(0)
	v_addc_co_u32_e32 v1, vcc, v11, v1, vcc
	ds_bpermute_b32 v11, v7, v1
	v_add_co_u32_e32 v2, vcc, 0x200, v2
	v_addc_co_u32_e32 v3, vcc, 0, v3, vcc
	s_waitcnt lgkmcnt(0)
	v_add_u32_e32 v1, v1, v11
	ds_bpermute_b32 v11, v8, v1
	s_waitcnt lgkmcnt(0)
	v_add_u32_e32 v1, v1, v11
	ds_bpermute_b32 v11, v9, v1
	;; [unrolled: 3-line block ×3, first 2 shown]
	s_waitcnt lgkmcnt(0)
	v_add3_u32 v4, v11, v4, v1
	s_cbranch_scc1 .LBB44_19
.LBB44_16:                              ; =>This Inner Loop Header: Depth=1
	v_cmp_gt_i32_e32 vcc, s9, v2
	v_mov_b32_e32 v1, 0
	s_and_saveexec_b64 s[0:1], vcc
	s_cbranch_execz .LBB44_15
; %bb.17:                               ;   in Loop: Header=BB44_16 Depth=1
	v_mov_b32_e32 v1, s3
	v_add_co_u32_e32 v12, vcc, s2, v2
	v_addc_co_u32_e32 v13, vcc, v1, v3, vcc
	global_load_ubyte v1, v[12:13], off
	s_branch .LBB44_15
.LBB44_18:
	v_mov_b32_e32 v4, 0
.LBB44_19:
	v_and_b32_e32 v1, 63, v0
	v_cmp_eq_u32_e32 vcc, 0, v1
	s_and_saveexec_b64 s[0:1], vcc
	s_cbranch_execz .LBB44_21
; %bb.20:
	v_lshrrev_b32_e32 v1, 4, v0
	v_and_b32_e32 v1, 60, v1
	ds_write_b32 v1, v4
.LBB44_21:
	s_or_b64 exec, exec, s[0:1]
	v_cmp_eq_u32_e32 vcc, 0, v0
	s_waitcnt lgkmcnt(0)
	s_barrier
	s_and_saveexec_b64 s[0:1], vcc
	s_cbranch_execz .LBB44_23
; %bb.22:
	v_mov_b32_e32 v8, 0
	ds_read_b128 v[0:3], v8
	ds_read_b128 v[4:7], v8 offset:16
	s_ashr_i32 s7, s6, 31
	s_lshl_b64 s[0:1], s[6:7], 2
	s_add_u32 s0, s12, s0
	s_waitcnt lgkmcnt(1)
	v_add_u32_e32 v0, v1, v0
	v_add_u32_e32 v0, v0, v2
	;; [unrolled: 1-line block ×3, first 2 shown]
	s_waitcnt lgkmcnt(0)
	v_add_u32_e32 v0, v0, v4
	v_add_u32_e32 v0, v0, v5
	v_add_u32_e32 v0, v0, v6
	v_add_u32_e32 v0, v0, v7
	s_addc_u32 s1, s13, s1
	global_store_dword v8, v0, s[0:1]
.LBB44_23:
	s_endpgm
	.section	.rodata,"a",@progbits
	.p2align	6, 0x0
	.amdhsa_kernel _ZN5aiter22opus_moe_sorting_entryINS_32MoeSortingMultiPhaseKernel_P0_v2INS_19MoeSortingProblemMpIifhLi1ELb1ELb0ELb1EEEEENS4_5KargsEEEvT0_
		.amdhsa_group_segment_fixed_size 32
		.amdhsa_private_segment_fixed_size 0
		.amdhsa_kernarg_size 72
		.amdhsa_user_sgpr_count 6
		.amdhsa_user_sgpr_private_segment_buffer 1
		.amdhsa_user_sgpr_dispatch_ptr 0
		.amdhsa_user_sgpr_queue_ptr 0
		.amdhsa_user_sgpr_kernarg_segment_ptr 1
		.amdhsa_user_sgpr_dispatch_id 0
		.amdhsa_user_sgpr_flat_scratch_init 0
		.amdhsa_user_sgpr_kernarg_preload_length 0
		.amdhsa_user_sgpr_kernarg_preload_offset 0
		.amdhsa_user_sgpr_private_segment_size 0
		.amdhsa_uses_dynamic_stack 0
		.amdhsa_system_sgpr_private_segment_wavefront_offset 0
		.amdhsa_system_sgpr_workgroup_id_x 1
		.amdhsa_system_sgpr_workgroup_id_y 0
		.amdhsa_system_sgpr_workgroup_id_z 0
		.amdhsa_system_sgpr_workgroup_info 0
		.amdhsa_system_vgpr_workitem_id 0
		.amdhsa_next_free_vgpr 32
		.amdhsa_next_free_sgpr 20
		.amdhsa_accum_offset 32
		.amdhsa_reserve_vcc 1
		.amdhsa_reserve_flat_scratch 0
		.amdhsa_float_round_mode_32 0
		.amdhsa_float_round_mode_16_64 0
		.amdhsa_float_denorm_mode_32 3
		.amdhsa_float_denorm_mode_16_64 3
		.amdhsa_dx10_clamp 1
		.amdhsa_ieee_mode 1
		.amdhsa_fp16_overflow 0
		.amdhsa_tg_split 0
		.amdhsa_exception_fp_ieee_invalid_op 0
		.amdhsa_exception_fp_denorm_src 0
		.amdhsa_exception_fp_ieee_div_zero 0
		.amdhsa_exception_fp_ieee_overflow 0
		.amdhsa_exception_fp_ieee_underflow 0
		.amdhsa_exception_fp_ieee_inexact 0
		.amdhsa_exception_int_div_zero 0
	.end_amdhsa_kernel
	.section	.text._ZN5aiter22opus_moe_sorting_entryINS_32MoeSortingMultiPhaseKernel_P0_v2INS_19MoeSortingProblemMpIifhLi1ELb1ELb0ELb1EEEEENS4_5KargsEEEvT0_,"axG",@progbits,_ZN5aiter22opus_moe_sorting_entryINS_32MoeSortingMultiPhaseKernel_P0_v2INS_19MoeSortingProblemMpIifhLi1ELb1ELb0ELb1EEEEENS4_5KargsEEEvT0_,comdat
.Lfunc_end44:
	.size	_ZN5aiter22opus_moe_sorting_entryINS_32MoeSortingMultiPhaseKernel_P0_v2INS_19MoeSortingProblemMpIifhLi1ELb1ELb0ELb1EEEEENS4_5KargsEEEvT0_, .Lfunc_end44-_ZN5aiter22opus_moe_sorting_entryINS_32MoeSortingMultiPhaseKernel_P0_v2INS_19MoeSortingProblemMpIifhLi1ELb1ELb0ELb1EEEEENS4_5KargsEEEvT0_
                                        ; -- End function
	.section	.AMDGPU.csdata,"",@progbits
; Kernel info:
; codeLenInByte = 1160
; NumSgprs: 24
; NumVgprs: 32
; NumAgprs: 0
; TotalNumVgprs: 32
; ScratchSize: 0
; MemoryBound: 0
; FloatMode: 240
; IeeeMode: 1
; LDSByteSize: 32 bytes/workgroup (compile time only)
; SGPRBlocks: 2
; VGPRBlocks: 3
; NumSGPRsForWavesPerEU: 24
; NumVGPRsForWavesPerEU: 32
; AccumOffset: 32
; Occupancy: 8
; WaveLimiterHint : 0
; COMPUTE_PGM_RSRC2:SCRATCH_EN: 0
; COMPUTE_PGM_RSRC2:USER_SGPR: 6
; COMPUTE_PGM_RSRC2:TRAP_HANDLER: 0
; COMPUTE_PGM_RSRC2:TGID_X_EN: 1
; COMPUTE_PGM_RSRC2:TGID_Y_EN: 0
; COMPUTE_PGM_RSRC2:TGID_Z_EN: 0
; COMPUTE_PGM_RSRC2:TIDIG_COMP_CNT: 0
; COMPUTE_PGM_RSRC3_GFX90A:ACCUM_OFFSET: 7
; COMPUTE_PGM_RSRC3_GFX90A:TG_SPLIT: 0
	.section	.text._ZN5aiter22opus_moe_sorting_entryINS_32MoeSortingMultiPhaseKernel_P0_v2INS_19MoeSortingProblemMpIifhLi1ELb0ELb1ELb1EEEEENS4_5KargsEEEvT0_,"axG",@progbits,_ZN5aiter22opus_moe_sorting_entryINS_32MoeSortingMultiPhaseKernel_P0_v2INS_19MoeSortingProblemMpIifhLi1ELb0ELb1ELb1EEEEENS4_5KargsEEEvT0_,comdat
	.protected	_ZN5aiter22opus_moe_sorting_entryINS_32MoeSortingMultiPhaseKernel_P0_v2INS_19MoeSortingProblemMpIifhLi1ELb0ELb1ELb1EEEEENS4_5KargsEEEvT0_ ; -- Begin function _ZN5aiter22opus_moe_sorting_entryINS_32MoeSortingMultiPhaseKernel_P0_v2INS_19MoeSortingProblemMpIifhLi1ELb0ELb1ELb1EEEEENS4_5KargsEEEvT0_
	.globl	_ZN5aiter22opus_moe_sorting_entryINS_32MoeSortingMultiPhaseKernel_P0_v2INS_19MoeSortingProblemMpIifhLi1ELb0ELb1ELb1EEEEENS4_5KargsEEEvT0_
	.p2align	8
	.type	_ZN5aiter22opus_moe_sorting_entryINS_32MoeSortingMultiPhaseKernel_P0_v2INS_19MoeSortingProblemMpIifhLi1ELb0ELb1ELb1EEEEENS4_5KargsEEEvT0_,@function
_ZN5aiter22opus_moe_sorting_entryINS_32MoeSortingMultiPhaseKernel_P0_v2INS_19MoeSortingProblemMpIifhLi1ELb0ELb1ELb1EEEEENS4_5KargsEEEvT0_: ; @_ZN5aiter22opus_moe_sorting_entryINS_32MoeSortingMultiPhaseKernel_P0_v2INS_19MoeSortingProblemMpIifhLi1ELb0ELb1ELb1EEEEENS4_5KargsEEEvT0_
; %bb.0:
	s_load_dwordx4 s[12:15], s[4:5], 0x0
	s_load_dwordx2 s[0:1], s[4:5], 0x10
	s_waitcnt lgkmcnt(0)
	s_load_dword s18, s[14:15], 0x0
	s_load_dwordx4 s[8:11], s[4:5], 0x20
	s_waitcnt lgkmcnt(0)
	s_add_i32 s2, s18, 31
	s_ashr_i32 s3, s2, 31
	s_lshr_b32 s3, s3, 27
	s_add_i32 s7, s2, s3
	s_andn2_b32 s7, s7, 31
	s_mul_i32 s2, s7, s6
	s_ashr_i32 s3, s2, 31
	s_add_u32 s2, s0, s2
	s_addc_u32 s3, s1, s3
	v_cmp_gt_i32_e32 vcc, s7, v0
	s_and_saveexec_b64 s[14:15], vcc
	s_cbranch_execz .LBB45_8
; %bb.1:
	v_xad_u32 v1, v0, -1, s7
	s_movk_i32 s0, 0xdff
	v_cmp_lt_u32_e32 vcc, s0, v1
	s_mov_b64 s[16:17], -1
	v_mov_b32_e32 v2, v0
	s_and_saveexec_b64 s[0:1], vcc
	s_cbranch_execz .LBB45_5
; %bb.2:
	v_lshrrev_b32_e32 v1, 9, v1
	v_add_u32_e32 v10, 1, v1
	v_add_u32_e32 v7, 0xe00, v0
	v_or_b32_e32 v6, 0xc00, v0
	v_add_u32_e32 v5, 0xa00, v0
	v_or_b32_e32 v4, 0x800, v0
	;; [unrolled: 2-line block ×3, first 2 shown]
	v_and_b32_e32 v11, 0xfffff8, v10
	v_add_u32_e32 v1, 0x200, v0
	v_pk_mov_b32 v[8:9], v[6:7], v[6:7] op_sel:[0,1]
	s_mov_b64 s[16:17], 0
	v_mov_b32_e32 v12, s3
	v_mov_b32_e32 v13, 0
	;; [unrolled: 1-line block ×3, first 2 shown]
	v_pk_mov_b32 v[6:7], v[4:5], v[4:5] op_sel:[0,1]
	v_pk_mov_b32 v[4:5], v[2:3], v[2:3] op_sel:[0,1]
	;; [unrolled: 1-line block ×3, first 2 shown]
.LBB45_3:                               ; =>This Inner Loop Header: Depth=1
	v_add_co_u32_e32 v16, vcc, s2, v2
	v_addc_co_u32_e32 v17, vcc, 0, v12, vcc
	v_add_co_u32_e32 v18, vcc, s2, v3
	v_addc_co_u32_e32 v19, vcc, 0, v12, vcc
	v_add_co_u32_e32 v20, vcc, s2, v4
	v_addc_co_u32_e32 v21, vcc, 0, v12, vcc
	v_add_co_u32_e32 v22, vcc, s2, v5
	v_addc_co_u32_e32 v23, vcc, 0, v12, vcc
	v_add_co_u32_e32 v24, vcc, s2, v6
	v_addc_co_u32_e32 v25, vcc, 0, v12, vcc
	v_add_co_u32_e32 v26, vcc, s2, v7
	v_addc_co_u32_e32 v27, vcc, 0, v12, vcc
	v_add_co_u32_e32 v28, vcc, s2, v8
	v_addc_co_u32_e32 v29, vcc, 0, v12, vcc
	v_add_co_u32_e32 v30, vcc, s2, v9
	v_addc_co_u32_e32 v31, vcc, 0, v12, vcc
	v_add_u32_e32 v14, -8, v14
	v_cmp_eq_u32_e32 vcc, 0, v14
	v_add_u32_e32 v9, 0x1000, v9
	v_add_u32_e32 v8, 0x1000, v8
	;; [unrolled: 1-line block ×8, first 2 shown]
	s_or_b64 s[16:17], vcc, s[16:17]
	global_store_byte v[16:17], v13, off
	global_store_byte v[18:19], v13, off
	;; [unrolled: 1-line block ×8, first 2 shown]
	s_andn2_b64 exec, exec, s[16:17]
	s_cbranch_execnz .LBB45_3
; %bb.4:
	s_or_b64 exec, exec, s[16:17]
	v_cmp_ne_u32_e32 vcc, v10, v11
	v_lshl_or_b32 v2, v11, 9, v0
	s_orn2_b64 s[16:17], vcc, exec
.LBB45_5:
	s_or_b64 exec, exec, s[0:1]
	s_and_b64 exec, exec, s[16:17]
	s_cbranch_execz .LBB45_8
; %bb.6:
	v_mov_b32_e32 v3, 0
	s_mov_b64 s[16:17], 0
	v_mov_b32_e32 v1, s3
	v_pk_mov_b32 v[4:5], v[2:3], v[2:3] op_sel:[0,1]
.LBB45_7:                               ; =>This Inner Loop Header: Depth=1
	v_add_co_u32_e32 v6, vcc, s2, v4
	v_addc_co_u32_e32 v7, vcc, v1, v5, vcc
	v_add_co_u32_e32 v4, vcc, 0x200, v4
	v_cmp_le_i32_e64 s[0:1], s7, v4
	s_or_b64 s[16:17], s[0:1], s[16:17]
	v_addc_co_u32_e32 v5, vcc, 0, v5, vcc
	global_store_byte v[6:7], v3, off
	s_andn2_b64 exec, exec, s[16:17]
	s_cbranch_execnz .LBB45_7
.LBB45_8:
	s_or_b64 exec, exec, s[14:15]
	s_load_dwordx2 s[4:5], s[4:5], 0x38
	s_mul_i32 s11, s18, s8
	v_cmp_gt_i32_e32 vcc, s11, v0
	s_waitcnt lgkmcnt(0)
	s_barrier
	s_and_saveexec_b64 s[14:15], vcc
	s_cbranch_execz .LBB45_13
; %bb.9:
	s_mov_b32 s1, 0
	s_mov_b32 s0, s9
	s_sub_i32 s16, 0, s8
	v_mad_u64_u32 v[2:3], s[8:9], v0, s9, 0
	v_lshlrev_b32_e32 v1, 2, v0
	s_lshl_b64 s[8:9], s[0:1], 9
	v_mov_b32_e32 v5, s13
	v_add_co_u32_e32 v4, vcc, s12, v1
	v_addc_co_u32_e32 v5, vcc, 0, v5, vcc
	s_mov_b64 s[12:13], 0
	v_mov_b32_e32 v1, s9
	v_mov_b32_e32 v6, v0
	s_branch .LBB45_11
.LBB45_10:                              ;   in Loop: Header=BB45_11 Depth=1
	s_or_b64 exec, exec, s[0:1]
	v_add_co_u32_e32 v2, vcc, s8, v2
	v_add_u32_e32 v6, 0x200, v6
	v_addc_co_u32_e32 v3, vcc, v3, v1, vcc
	v_add_co_u32_e32 v4, vcc, 0x800, v4
	v_cmp_le_i32_e64 s[0:1], s11, v6
	s_or_b64 s[12:13], s[0:1], s[12:13]
	v_addc_co_u32_e32 v5, vcc, 0, v5, vcc
	s_andn2_b64 exec, exec, s[12:13]
	s_cbranch_execz .LBB45_13
.LBB45_11:                              ; =>This Inner Loop Header: Depth=1
	global_load_dword v8, v[4:5], off
	v_add_u32_e32 v7, v6, v3
	v_lshrrev_b32_e32 v7, s10, v7
	v_cmp_gt_i32_e64 s[0:1], s18, v7
	s_waitcnt vmcnt(0)
	v_cmp_eq_u32_e32 vcc, s6, v8
	s_and_b64 s[20:21], vcc, s[0:1]
	s_and_saveexec_b64 s[0:1], s[20:21]
	s_cbranch_execz .LBB45_10
; %bb.12:                               ;   in Loop: Header=BB45_11 Depth=1
	v_mad_u64_u32 v[8:9], s[20:21], s16, v7, v[6:7]
	v_add_u16_e32 v8, 1, v8
	global_store_byte v7, v8, s[2:3]
	s_branch .LBB45_10
.LBB45_13:
	s_or_b64 exec, exec, s[14:15]
	s_cmp_lt_i32 s18, 1
	s_barrier
	s_cbranch_scc1 .LBB45_18
; %bb.14:
	v_mbcnt_lo_u32_b32 v1, -1, 0
	v_mbcnt_hi_u32_b32 v1, -1, v1
	s_add_i32 s0, s7, 0x1ff
	v_lshlrev_b32_e32 v1, 2, v1
	s_lshr_b32 s0, s0, 9
	v_xor_b32_e32 v5, 4, v1
	v_xor_b32_e32 v6, 8, v1
	;; [unrolled: 1-line block ×6, first 2 shown]
	v_mov_b32_e32 v1, 0
	v_mov_b32_e32 v4, 0
	s_max_u32 s8, s0, 1
	v_pk_mov_b32 v[2:3], v[0:1], v[0:1] op_sel:[0,1]
	s_branch .LBB45_16
.LBB45_15:                              ;   in Loop: Header=BB45_16 Depth=1
	s_or_b64 exec, exec, s[0:1]
	s_waitcnt vmcnt(0)
	v_cmp_ne_u16_e32 vcc, 0, v1
	v_cndmask_b32_e64 v1, 0, 1, vcc
	ds_bpermute_b32 v1, v5, v1
	s_add_i32 s8, s8, -1
	s_cmp_eq_u32 s8, 0
	s_waitcnt lgkmcnt(0)
	v_addc_co_u32_e64 v11, s[0:1], 0, v1, vcc
	ds_bpermute_b32 v11, v6, v11
	s_waitcnt lgkmcnt(0)
	v_addc_co_u32_e32 v1, vcc, v11, v1, vcc
	ds_bpermute_b32 v11, v7, v1
	v_add_co_u32_e32 v2, vcc, 0x200, v2
	v_addc_co_u32_e32 v3, vcc, 0, v3, vcc
	s_waitcnt lgkmcnt(0)
	v_add_u32_e32 v1, v1, v11
	ds_bpermute_b32 v11, v8, v1
	s_waitcnt lgkmcnt(0)
	v_add_u32_e32 v1, v1, v11
	ds_bpermute_b32 v11, v9, v1
	;; [unrolled: 3-line block ×3, first 2 shown]
	s_waitcnt lgkmcnt(0)
	v_add3_u32 v4, v11, v4, v1
	s_cbranch_scc1 .LBB45_19
.LBB45_16:                              ; =>This Inner Loop Header: Depth=1
	v_cmp_gt_i32_e32 vcc, s7, v2
	v_mov_b32_e32 v1, 0
	s_and_saveexec_b64 s[0:1], vcc
	s_cbranch_execz .LBB45_15
; %bb.17:                               ;   in Loop: Header=BB45_16 Depth=1
	v_mov_b32_e32 v1, s3
	v_add_co_u32_e32 v12, vcc, s2, v2
	v_addc_co_u32_e32 v13, vcc, v1, v3, vcc
	global_load_ubyte v1, v[12:13], off
	s_branch .LBB45_15
.LBB45_18:
	v_mov_b32_e32 v4, 0
.LBB45_19:
	v_and_b32_e32 v1, 63, v0
	v_cmp_eq_u32_e32 vcc, 0, v1
	s_and_saveexec_b64 s[0:1], vcc
	s_cbranch_execz .LBB45_21
; %bb.20:
	v_lshrrev_b32_e32 v1, 4, v0
	v_and_b32_e32 v1, 60, v1
	ds_write_b32 v1, v4
.LBB45_21:
	s_or_b64 exec, exec, s[0:1]
	v_cmp_eq_u32_e32 vcc, 0, v0
	s_waitcnt lgkmcnt(0)
	s_barrier
	s_and_saveexec_b64 s[0:1], vcc
	s_cbranch_execz .LBB45_23
; %bb.22:
	v_mov_b32_e32 v8, 0
	ds_read_b128 v[0:3], v8
	ds_read_b128 v[4:7], v8 offset:16
	s_ashr_i32 s7, s6, 31
	s_lshl_b64 s[0:1], s[6:7], 2
	s_add_u32 s0, s4, s0
	s_waitcnt lgkmcnt(1)
	v_add_u32_e32 v0, v1, v0
	v_add_u32_e32 v0, v0, v2
	;; [unrolled: 1-line block ×3, first 2 shown]
	s_waitcnt lgkmcnt(0)
	v_add_u32_e32 v0, v0, v4
	v_add_u32_e32 v0, v0, v5
	;; [unrolled: 1-line block ×4, first 2 shown]
	s_addc_u32 s1, s5, s1
	global_store_dword v8, v0, s[0:1]
.LBB45_23:
	s_endpgm
	.section	.rodata,"a",@progbits
	.p2align	6, 0x0
	.amdhsa_kernel _ZN5aiter22opus_moe_sorting_entryINS_32MoeSortingMultiPhaseKernel_P0_v2INS_19MoeSortingProblemMpIifhLi1ELb0ELb1ELb1EEEEENS4_5KargsEEEvT0_
		.amdhsa_group_segment_fixed_size 32
		.amdhsa_private_segment_fixed_size 0
		.amdhsa_kernarg_size 72
		.amdhsa_user_sgpr_count 6
		.amdhsa_user_sgpr_private_segment_buffer 1
		.amdhsa_user_sgpr_dispatch_ptr 0
		.amdhsa_user_sgpr_queue_ptr 0
		.amdhsa_user_sgpr_kernarg_segment_ptr 1
		.amdhsa_user_sgpr_dispatch_id 0
		.amdhsa_user_sgpr_flat_scratch_init 0
		.amdhsa_user_sgpr_kernarg_preload_length 0
		.amdhsa_user_sgpr_kernarg_preload_offset 0
		.amdhsa_user_sgpr_private_segment_size 0
		.amdhsa_uses_dynamic_stack 0
		.amdhsa_system_sgpr_private_segment_wavefront_offset 0
		.amdhsa_system_sgpr_workgroup_id_x 1
		.amdhsa_system_sgpr_workgroup_id_y 0
		.amdhsa_system_sgpr_workgroup_id_z 0
		.amdhsa_system_sgpr_workgroup_info 0
		.amdhsa_system_vgpr_workitem_id 0
		.amdhsa_next_free_vgpr 32
		.amdhsa_next_free_sgpr 22
		.amdhsa_accum_offset 32
		.amdhsa_reserve_vcc 1
		.amdhsa_reserve_flat_scratch 0
		.amdhsa_float_round_mode_32 0
		.amdhsa_float_round_mode_16_64 0
		.amdhsa_float_denorm_mode_32 3
		.amdhsa_float_denorm_mode_16_64 3
		.amdhsa_dx10_clamp 1
		.amdhsa_ieee_mode 1
		.amdhsa_fp16_overflow 0
		.amdhsa_tg_split 0
		.amdhsa_exception_fp_ieee_invalid_op 0
		.amdhsa_exception_fp_denorm_src 0
		.amdhsa_exception_fp_ieee_div_zero 0
		.amdhsa_exception_fp_ieee_overflow 0
		.amdhsa_exception_fp_ieee_underflow 0
		.amdhsa_exception_fp_ieee_inexact 0
		.amdhsa_exception_int_div_zero 0
	.end_amdhsa_kernel
	.section	.text._ZN5aiter22opus_moe_sorting_entryINS_32MoeSortingMultiPhaseKernel_P0_v2INS_19MoeSortingProblemMpIifhLi1ELb0ELb1ELb1EEEEENS4_5KargsEEEvT0_,"axG",@progbits,_ZN5aiter22opus_moe_sorting_entryINS_32MoeSortingMultiPhaseKernel_P0_v2INS_19MoeSortingProblemMpIifhLi1ELb0ELb1ELb1EEEEENS4_5KargsEEEvT0_,comdat
.Lfunc_end45:
	.size	_ZN5aiter22opus_moe_sorting_entryINS_32MoeSortingMultiPhaseKernel_P0_v2INS_19MoeSortingProblemMpIifhLi1ELb0ELb1ELb1EEEEENS4_5KargsEEEvT0_, .Lfunc_end45-_ZN5aiter22opus_moe_sorting_entryINS_32MoeSortingMultiPhaseKernel_P0_v2INS_19MoeSortingProblemMpIifhLi1ELb0ELb1ELb1EEEEENS4_5KargsEEEvT0_
                                        ; -- End function
	.section	.AMDGPU.csdata,"",@progbits
; Kernel info:
; codeLenInByte = 1196
; NumSgprs: 26
; NumVgprs: 32
; NumAgprs: 0
; TotalNumVgprs: 32
; ScratchSize: 0
; MemoryBound: 0
; FloatMode: 240
; IeeeMode: 1
; LDSByteSize: 32 bytes/workgroup (compile time only)
; SGPRBlocks: 3
; VGPRBlocks: 3
; NumSGPRsForWavesPerEU: 26
; NumVGPRsForWavesPerEU: 32
; AccumOffset: 32
; Occupancy: 8
; WaveLimiterHint : 1
; COMPUTE_PGM_RSRC2:SCRATCH_EN: 0
; COMPUTE_PGM_RSRC2:USER_SGPR: 6
; COMPUTE_PGM_RSRC2:TRAP_HANDLER: 0
; COMPUTE_PGM_RSRC2:TGID_X_EN: 1
; COMPUTE_PGM_RSRC2:TGID_Y_EN: 0
; COMPUTE_PGM_RSRC2:TGID_Z_EN: 0
; COMPUTE_PGM_RSRC2:TIDIG_COMP_CNT: 0
; COMPUTE_PGM_RSRC3_GFX90A:ACCUM_OFFSET: 7
; COMPUTE_PGM_RSRC3_GFX90A:TG_SPLIT: 0
	.section	.text._ZN5aiter22opus_moe_sorting_entryINS_32MoeSortingMultiPhaseKernel_P0_v2INS_19MoeSortingProblemMpIifhLi1ELb0ELb0ELb1EEEEENS4_5KargsEEEvT0_,"axG",@progbits,_ZN5aiter22opus_moe_sorting_entryINS_32MoeSortingMultiPhaseKernel_P0_v2INS_19MoeSortingProblemMpIifhLi1ELb0ELb0ELb1EEEEENS4_5KargsEEEvT0_,comdat
	.protected	_ZN5aiter22opus_moe_sorting_entryINS_32MoeSortingMultiPhaseKernel_P0_v2INS_19MoeSortingProblemMpIifhLi1ELb0ELb0ELb1EEEEENS4_5KargsEEEvT0_ ; -- Begin function _ZN5aiter22opus_moe_sorting_entryINS_32MoeSortingMultiPhaseKernel_P0_v2INS_19MoeSortingProblemMpIifhLi1ELb0ELb0ELb1EEEEENS4_5KargsEEEvT0_
	.globl	_ZN5aiter22opus_moe_sorting_entryINS_32MoeSortingMultiPhaseKernel_P0_v2INS_19MoeSortingProblemMpIifhLi1ELb0ELb0ELb1EEEEENS4_5KargsEEEvT0_
	.p2align	8
	.type	_ZN5aiter22opus_moe_sorting_entryINS_32MoeSortingMultiPhaseKernel_P0_v2INS_19MoeSortingProblemMpIifhLi1ELb0ELb0ELb1EEEEENS4_5KargsEEEvT0_,@function
_ZN5aiter22opus_moe_sorting_entryINS_32MoeSortingMultiPhaseKernel_P0_v2INS_19MoeSortingProblemMpIifhLi1ELb0ELb0ELb1EEEEENS4_5KargsEEEvT0_: ; @_ZN5aiter22opus_moe_sorting_entryINS_32MoeSortingMultiPhaseKernel_P0_v2INS_19MoeSortingProblemMpIifhLi1ELb0ELb0ELb1EEEEENS4_5KargsEEEvT0_
; %bb.0:
	s_load_dwordx4 s[8:11], s[4:5], 0x18
	s_load_dwordx2 s[0:1], s[4:5], 0x10
	s_load_dword s7, s[4:5], 0x28
	s_waitcnt lgkmcnt(0)
	s_mul_i32 s2, s9, s6
	s_ashr_i32 s3, s2, 31
	s_add_u32 s2, s0, s2
	s_addc_u32 s3, s1, s3
	v_cmp_gt_i32_e32 vcc, s9, v0
	s_and_saveexec_b64 s[12:13], vcc
	s_cbranch_execz .LBB46_8
; %bb.1:
	v_xad_u32 v1, v0, -1, s9
	s_movk_i32 s0, 0xdff
	v_cmp_lt_u32_e32 vcc, s0, v1
	s_mov_b64 s[14:15], -1
	v_mov_b32_e32 v2, v0
	s_and_saveexec_b64 s[0:1], vcc
	s_cbranch_execz .LBB46_5
; %bb.2:
	v_lshrrev_b32_e32 v1, 9, v1
	v_add_u32_e32 v10, 1, v1
	v_add_u32_e32 v7, 0xe00, v0
	v_or_b32_e32 v6, 0xc00, v0
	v_add_u32_e32 v5, 0xa00, v0
	v_or_b32_e32 v4, 0x800, v0
	;; [unrolled: 2-line block ×3, first 2 shown]
	v_and_b32_e32 v11, 0xfffff8, v10
	v_add_u32_e32 v1, 0x200, v0
	v_pk_mov_b32 v[8:9], v[6:7], v[6:7] op_sel:[0,1]
	s_mov_b64 s[14:15], 0
	v_mov_b32_e32 v12, s3
	v_mov_b32_e32 v13, 0
	;; [unrolled: 1-line block ×3, first 2 shown]
	v_pk_mov_b32 v[6:7], v[4:5], v[4:5] op_sel:[0,1]
	v_pk_mov_b32 v[4:5], v[2:3], v[2:3] op_sel:[0,1]
	;; [unrolled: 1-line block ×3, first 2 shown]
.LBB46_3:                               ; =>This Inner Loop Header: Depth=1
	v_add_co_u32_e32 v16, vcc, s2, v2
	v_addc_co_u32_e32 v17, vcc, 0, v12, vcc
	v_add_co_u32_e32 v18, vcc, s2, v3
	v_addc_co_u32_e32 v19, vcc, 0, v12, vcc
	;; [unrolled: 2-line block ×8, first 2 shown]
	v_add_u32_e32 v14, -8, v14
	v_cmp_eq_u32_e32 vcc, 0, v14
	v_add_u32_e32 v9, 0x1000, v9
	v_add_u32_e32 v8, 0x1000, v8
	;; [unrolled: 1-line block ×8, first 2 shown]
	s_or_b64 s[14:15], vcc, s[14:15]
	global_store_byte v[16:17], v13, off
	global_store_byte v[18:19], v13, off
	;; [unrolled: 1-line block ×8, first 2 shown]
	s_andn2_b64 exec, exec, s[14:15]
	s_cbranch_execnz .LBB46_3
; %bb.4:
	s_or_b64 exec, exec, s[14:15]
	v_cmp_ne_u32_e32 vcc, v10, v11
	v_lshl_or_b32 v2, v11, 9, v0
	s_orn2_b64 s[14:15], vcc, exec
.LBB46_5:
	s_or_b64 exec, exec, s[0:1]
	s_and_b64 exec, exec, s[14:15]
	s_cbranch_execz .LBB46_8
; %bb.6:
	v_mov_b32_e32 v3, 0
	s_mov_b64 s[14:15], 0
	v_mov_b32_e32 v1, s3
	v_pk_mov_b32 v[4:5], v[2:3], v[2:3] op_sel:[0,1]
.LBB46_7:                               ; =>This Inner Loop Header: Depth=1
	v_add_co_u32_e32 v6, vcc, s2, v4
	v_addc_co_u32_e32 v7, vcc, v1, v5, vcc
	v_add_co_u32_e32 v4, vcc, 0x200, v4
	v_cmp_le_i32_e64 s[0:1], s9, v4
	s_or_b64 s[14:15], s[0:1], s[14:15]
	v_addc_co_u32_e32 v5, vcc, 0, v5, vcc
	global_store_byte v[6:7], v3, off
	s_andn2_b64 exec, exec, s[14:15]
	s_cbranch_execnz .LBB46_7
.LBB46_8:
	s_or_b64 exec, exec, s[12:13]
	s_load_dwordx2 s[12:13], s[4:5], 0x38
	s_mul_i32 s8, s10, s8
	v_cmp_gt_i32_e32 vcc, s8, v0
	s_waitcnt lgkmcnt(0)
	s_barrier
	s_and_saveexec_b64 s[14:15], vcc
	s_cbranch_execz .LBB46_13
; %bb.9:
	s_load_dwordx2 s[0:1], s[4:5], 0x0
	s_mov_b32 s5, 0
	s_mov_b32 s4, s11
	v_lshlrev_b32_e32 v1, 2, v0
	s_sub_i32 s16, 0, s10
	v_mad_u64_u32 v[2:3], s[10:11], v0, s11, 0
	s_lshl_b64 s[4:5], s[4:5], 9
	s_waitcnt lgkmcnt(0)
	v_mov_b32_e32 v5, s1
	v_add_co_u32_e32 v4, vcc, s0, v1
	v_addc_co_u32_e32 v5, vcc, 0, v5, vcc
	s_mov_b64 s[10:11], 0
	v_mov_b32_e32 v1, s5
	v_mov_b32_e32 v6, v0
	s_branch .LBB46_11
.LBB46_10:                              ;   in Loop: Header=BB46_11 Depth=1
	s_or_b64 exec, exec, s[0:1]
	v_add_co_u32_e32 v2, vcc, s4, v2
	v_add_u32_e32 v6, 0x200, v6
	v_addc_co_u32_e32 v3, vcc, v3, v1, vcc
	v_add_co_u32_e32 v4, vcc, 0x800, v4
	v_cmp_le_i32_e64 s[0:1], s8, v6
	s_or_b64 s[10:11], s[0:1], s[10:11]
	v_addc_co_u32_e32 v5, vcc, 0, v5, vcc
	s_andn2_b64 exec, exec, s[10:11]
	s_cbranch_execz .LBB46_13
.LBB46_11:                              ; =>This Inner Loop Header: Depth=1
	global_load_dword v7, v[4:5], off
	s_waitcnt vmcnt(0)
	v_cmp_eq_u32_e32 vcc, s6, v7
	s_and_saveexec_b64 s[0:1], vcc
	s_cbranch_execz .LBB46_10
; %bb.12:                               ;   in Loop: Header=BB46_11 Depth=1
	v_add_u32_e32 v7, v6, v3
	v_lshrrev_b32_e32 v7, s7, v7
	v_mad_u64_u32 v[8:9], s[18:19], s16, v7, v[6:7]
	v_add_u16_e32 v8, 1, v8
	global_store_byte v7, v8, s[2:3]
	s_branch .LBB46_10
.LBB46_13:
	s_or_b64 exec, exec, s[14:15]
	s_cmp_lt_i32 s9, 1
	s_barrier
	s_cbranch_scc1 .LBB46_18
; %bb.14:
	v_mbcnt_lo_u32_b32 v1, -1, 0
	v_mbcnt_hi_u32_b32 v1, -1, v1
	v_lshlrev_b32_e32 v1, 2, v1
	s_add_i32 s0, s9, 0x1ff
	v_xor_b32_e32 v5, 4, v1
	v_xor_b32_e32 v6, 8, v1
	;; [unrolled: 1-line block ×6, first 2 shown]
	v_mov_b32_e32 v1, 0
	s_lshr_b32 s4, s0, 9
	v_mov_b32_e32 v4, 0
	v_pk_mov_b32 v[2:3], v[0:1], v[0:1] op_sel:[0,1]
	s_branch .LBB46_16
.LBB46_15:                              ;   in Loop: Header=BB46_16 Depth=1
	s_or_b64 exec, exec, s[0:1]
	s_waitcnt vmcnt(0)
	v_cmp_ne_u16_e32 vcc, 0, v1
	v_cndmask_b32_e64 v1, 0, 1, vcc
	ds_bpermute_b32 v1, v5, v1
	s_add_i32 s4, s4, -1
	s_cmp_eq_u32 s4, 0
	s_waitcnt lgkmcnt(0)
	v_addc_co_u32_e64 v11, s[0:1], 0, v1, vcc
	ds_bpermute_b32 v11, v6, v11
	s_waitcnt lgkmcnt(0)
	v_addc_co_u32_e32 v1, vcc, v11, v1, vcc
	ds_bpermute_b32 v11, v7, v1
	v_add_co_u32_e32 v2, vcc, 0x200, v2
	v_addc_co_u32_e32 v3, vcc, 0, v3, vcc
	s_waitcnt lgkmcnt(0)
	v_add_u32_e32 v1, v1, v11
	ds_bpermute_b32 v11, v8, v1
	s_waitcnt lgkmcnt(0)
	v_add_u32_e32 v1, v1, v11
	ds_bpermute_b32 v11, v9, v1
	;; [unrolled: 3-line block ×3, first 2 shown]
	s_waitcnt lgkmcnt(0)
	v_add3_u32 v4, v11, v4, v1
	s_cbranch_scc1 .LBB46_19
.LBB46_16:                              ; =>This Inner Loop Header: Depth=1
	v_cmp_gt_i32_e32 vcc, s9, v2
	v_mov_b32_e32 v1, 0
	s_and_saveexec_b64 s[0:1], vcc
	s_cbranch_execz .LBB46_15
; %bb.17:                               ;   in Loop: Header=BB46_16 Depth=1
	v_mov_b32_e32 v1, s3
	v_add_co_u32_e32 v12, vcc, s2, v2
	v_addc_co_u32_e32 v13, vcc, v1, v3, vcc
	global_load_ubyte v1, v[12:13], off
	s_branch .LBB46_15
.LBB46_18:
	v_mov_b32_e32 v4, 0
.LBB46_19:
	v_and_b32_e32 v1, 63, v0
	v_cmp_eq_u32_e32 vcc, 0, v1
	s_and_saveexec_b64 s[0:1], vcc
	s_cbranch_execz .LBB46_21
; %bb.20:
	v_lshrrev_b32_e32 v1, 4, v0
	v_and_b32_e32 v1, 60, v1
	ds_write_b32 v1, v4
.LBB46_21:
	s_or_b64 exec, exec, s[0:1]
	v_cmp_eq_u32_e32 vcc, 0, v0
	s_waitcnt lgkmcnt(0)
	s_barrier
	s_and_saveexec_b64 s[0:1], vcc
	s_cbranch_execz .LBB46_23
; %bb.22:
	v_mov_b32_e32 v8, 0
	ds_read_b128 v[0:3], v8
	ds_read_b128 v[4:7], v8 offset:16
	s_ashr_i32 s7, s6, 31
	s_lshl_b64 s[0:1], s[6:7], 2
	s_add_u32 s0, s12, s0
	s_waitcnt lgkmcnt(1)
	v_add_u32_e32 v0, v1, v0
	v_add_u32_e32 v0, v0, v2
	;; [unrolled: 1-line block ×3, first 2 shown]
	s_waitcnt lgkmcnt(0)
	v_add_u32_e32 v0, v0, v4
	v_add_u32_e32 v0, v0, v5
	;; [unrolled: 1-line block ×4, first 2 shown]
	s_addc_u32 s1, s13, s1
	global_store_dword v8, v0, s[0:1]
.LBB46_23:
	s_endpgm
	.section	.rodata,"a",@progbits
	.p2align	6, 0x0
	.amdhsa_kernel _ZN5aiter22opus_moe_sorting_entryINS_32MoeSortingMultiPhaseKernel_P0_v2INS_19MoeSortingProblemMpIifhLi1ELb0ELb0ELb1EEEEENS4_5KargsEEEvT0_
		.amdhsa_group_segment_fixed_size 32
		.amdhsa_private_segment_fixed_size 0
		.amdhsa_kernarg_size 72
		.amdhsa_user_sgpr_count 6
		.amdhsa_user_sgpr_private_segment_buffer 1
		.amdhsa_user_sgpr_dispatch_ptr 0
		.amdhsa_user_sgpr_queue_ptr 0
		.amdhsa_user_sgpr_kernarg_segment_ptr 1
		.amdhsa_user_sgpr_dispatch_id 0
		.amdhsa_user_sgpr_flat_scratch_init 0
		.amdhsa_user_sgpr_kernarg_preload_length 0
		.amdhsa_user_sgpr_kernarg_preload_offset 0
		.amdhsa_user_sgpr_private_segment_size 0
		.amdhsa_uses_dynamic_stack 0
		.amdhsa_system_sgpr_private_segment_wavefront_offset 0
		.amdhsa_system_sgpr_workgroup_id_x 1
		.amdhsa_system_sgpr_workgroup_id_y 0
		.amdhsa_system_sgpr_workgroup_id_z 0
		.amdhsa_system_sgpr_workgroup_info 0
		.amdhsa_system_vgpr_workitem_id 0
		.amdhsa_next_free_vgpr 32
		.amdhsa_next_free_sgpr 20
		.amdhsa_accum_offset 32
		.amdhsa_reserve_vcc 1
		.amdhsa_reserve_flat_scratch 0
		.amdhsa_float_round_mode_32 0
		.amdhsa_float_round_mode_16_64 0
		.amdhsa_float_denorm_mode_32 3
		.amdhsa_float_denorm_mode_16_64 3
		.amdhsa_dx10_clamp 1
		.amdhsa_ieee_mode 1
		.amdhsa_fp16_overflow 0
		.amdhsa_tg_split 0
		.amdhsa_exception_fp_ieee_invalid_op 0
		.amdhsa_exception_fp_denorm_src 0
		.amdhsa_exception_fp_ieee_div_zero 0
		.amdhsa_exception_fp_ieee_overflow 0
		.amdhsa_exception_fp_ieee_underflow 0
		.amdhsa_exception_fp_ieee_inexact 0
		.amdhsa_exception_int_div_zero 0
	.end_amdhsa_kernel
	.section	.text._ZN5aiter22opus_moe_sorting_entryINS_32MoeSortingMultiPhaseKernel_P0_v2INS_19MoeSortingProblemMpIifhLi1ELb0ELb0ELb1EEEEENS4_5KargsEEEvT0_,"axG",@progbits,_ZN5aiter22opus_moe_sorting_entryINS_32MoeSortingMultiPhaseKernel_P0_v2INS_19MoeSortingProblemMpIifhLi1ELb0ELb0ELb1EEEEENS4_5KargsEEEvT0_,comdat
.Lfunc_end46:
	.size	_ZN5aiter22opus_moe_sorting_entryINS_32MoeSortingMultiPhaseKernel_P0_v2INS_19MoeSortingProblemMpIifhLi1ELb0ELb0ELb1EEEEENS4_5KargsEEEvT0_, .Lfunc_end46-_ZN5aiter22opus_moe_sorting_entryINS_32MoeSortingMultiPhaseKernel_P0_v2INS_19MoeSortingProblemMpIifhLi1ELb0ELb0ELb1EEEEENS4_5KargsEEEvT0_
                                        ; -- End function
	.section	.AMDGPU.csdata,"",@progbits
; Kernel info:
; codeLenInByte = 1160
; NumSgprs: 24
; NumVgprs: 32
; NumAgprs: 0
; TotalNumVgprs: 32
; ScratchSize: 0
; MemoryBound: 0
; FloatMode: 240
; IeeeMode: 1
; LDSByteSize: 32 bytes/workgroup (compile time only)
; SGPRBlocks: 2
; VGPRBlocks: 3
; NumSGPRsForWavesPerEU: 24
; NumVGPRsForWavesPerEU: 32
; AccumOffset: 32
; Occupancy: 8
; WaveLimiterHint : 0
; COMPUTE_PGM_RSRC2:SCRATCH_EN: 0
; COMPUTE_PGM_RSRC2:USER_SGPR: 6
; COMPUTE_PGM_RSRC2:TRAP_HANDLER: 0
; COMPUTE_PGM_RSRC2:TGID_X_EN: 1
; COMPUTE_PGM_RSRC2:TGID_Y_EN: 0
; COMPUTE_PGM_RSRC2:TGID_Z_EN: 0
; COMPUTE_PGM_RSRC2:TIDIG_COMP_CNT: 0
; COMPUTE_PGM_RSRC3_GFX90A:ACCUM_OFFSET: 7
; COMPUTE_PGM_RSRC3_GFX90A:TG_SPLIT: 0
	.section	.text._ZN5aiter22opus_moe_sorting_entryINS_32MoeSortingMultiPhaseKernel_P0_v2INS_19MoeSortingProblemMpIifiLi1ELb1ELb1ELb1EEEEENS4_5KargsEEEvT0_,"axG",@progbits,_ZN5aiter22opus_moe_sorting_entryINS_32MoeSortingMultiPhaseKernel_P0_v2INS_19MoeSortingProblemMpIifiLi1ELb1ELb1ELb1EEEEENS4_5KargsEEEvT0_,comdat
	.protected	_ZN5aiter22opus_moe_sorting_entryINS_32MoeSortingMultiPhaseKernel_P0_v2INS_19MoeSortingProblemMpIifiLi1ELb1ELb1ELb1EEEEENS4_5KargsEEEvT0_ ; -- Begin function _ZN5aiter22opus_moe_sorting_entryINS_32MoeSortingMultiPhaseKernel_P0_v2INS_19MoeSortingProblemMpIifiLi1ELb1ELb1ELb1EEEEENS4_5KargsEEEvT0_
	.globl	_ZN5aiter22opus_moe_sorting_entryINS_32MoeSortingMultiPhaseKernel_P0_v2INS_19MoeSortingProblemMpIifiLi1ELb1ELb1ELb1EEEEENS4_5KargsEEEvT0_
	.p2align	8
	.type	_ZN5aiter22opus_moe_sorting_entryINS_32MoeSortingMultiPhaseKernel_P0_v2INS_19MoeSortingProblemMpIifiLi1ELb1ELb1ELb1EEEEENS4_5KargsEEEvT0_,@function
_ZN5aiter22opus_moe_sorting_entryINS_32MoeSortingMultiPhaseKernel_P0_v2INS_19MoeSortingProblemMpIifiLi1ELb1ELb1ELb1EEEEENS4_5KargsEEEvT0_: ; @_ZN5aiter22opus_moe_sorting_entryINS_32MoeSortingMultiPhaseKernel_P0_v2INS_19MoeSortingProblemMpIifiLi1ELb1ELb1ELb1EEEEENS4_5KargsEEEvT0_
; %bb.0:
	s_load_dwordx4 s[16:19], s[4:5], 0x0
	s_load_dwordx2 s[20:21], s[4:5], 0x10
	s_ashr_i32 s7, s6, 31
	s_lshl_b64 s[2:3], s[6:7], 2
	s_waitcnt lgkmcnt(0)
	s_load_dword s24, s[18:19], 0x0
	s_load_dwordx8 s[8:15], s[4:5], 0x20
	s_waitcnt lgkmcnt(0)
	s_add_i32 s0, s24, 31
	s_ashr_i32 s1, s0, 31
	s_lshr_b32 s1, s1, 27
	s_add_i32 s7, s0, s1
	s_andn2_b32 s7, s7, 31
	s_add_u32 s0, s12, s2
	s_addc_u32 s1, s13, s3
	s_mul_i32 s4, s7, s6
	s_load_dword s11, s[0:1], 0x0
	s_ashr_i32 s5, s4, 31
	s_lshl_b64 s[4:5], s[4:5], 2
	s_add_u32 s25, s20, s4
	s_addc_u32 s26, s21, s5
	v_cmp_gt_i32_e32 vcc, s7, v0
	s_and_saveexec_b64 s[12:13], vcc
	s_cbranch_execz .LBB47_8
; %bb.1:
	v_xad_u32 v1, v0, -1, s7
	s_movk_i32 s0, 0x5ff
	v_cmp_lt_u32_e32 vcc, s0, v1
	s_mov_b64 s[0:1], -1
	v_mov_b32_e32 v2, v0
	s_and_saveexec_b64 s[18:19], vcc
	s_cbranch_execz .LBB47_5
; %bb.2:
	v_lshrrev_b32_e32 v1, 9, v1
	v_add_u32_e32 v6, 1, v1
	v_and_b32_e32 v7, 0xfffffc, v6
	v_add_u32_e32 v1, 0x200, v0
	s_mov_b64 s[22:23], 0
	v_mov_b32_e32 v8, s26
	v_mov_b32_e32 v3, 0
	v_mov_b32_e32 v9, v7
	v_pk_mov_b32 v[4:5], v[0:1], v[0:1] op_sel:[0,1]
.LBB47_3:                               ; =>This Inner Loop Header: Depth=1
	v_mov_b32_e32 v2, v4
	v_lshlrev_b64 v[14:15], 2, v[2:3]
	v_add_u32_e32 v12, 0x400, v4
	v_mov_b32_e32 v13, v3
	v_add_co_u32_e64 v14, s[0:1], s25, v14
	v_lshlrev_b64 v[12:13], 2, v[12:13]
	v_addc_co_u32_e64 v15, s[0:1], v8, v15, s[0:1]
	v_add_u32_e32 v10, 0x400, v5
	v_mov_b32_e32 v11, v3
	v_add_u32_e32 v9, -4, v9
	v_mov_b32_e32 v2, v5
	v_add_co_u32_e64 v12, s[0:1], s25, v12
	v_lshlrev_b64 v[10:11], 2, v[10:11]
	v_cmp_eq_u32_e32 vcc, 0, v9
	v_lshlrev_b64 v[16:17], 2, v[2:3]
	v_addc_co_u32_e64 v13, s[0:1], v8, v13, s[0:1]
	v_add_u32_e32 v4, 0x800, v4
	v_add_u32_e32 v5, 0x800, v5
	v_add_co_u32_e64 v10, s[0:1], s25, v10
	s_or_b64 s[22:23], vcc, s[22:23]
	v_add_co_u32_e32 v16, vcc, s25, v16
	v_addc_co_u32_e64 v11, s[0:1], v8, v11, s[0:1]
	v_addc_co_u32_e32 v17, vcc, v8, v17, vcc
	global_store_dword v[14:15], v3, off
	global_store_dword v[16:17], v3, off
	;; [unrolled: 1-line block ×4, first 2 shown]
	s_andn2_b64 exec, exec, s[22:23]
	s_cbranch_execnz .LBB47_3
; %bb.4:
	s_or_b64 exec, exec, s[22:23]
	v_cmp_ne_u32_e32 vcc, v6, v7
	v_lshl_or_b32 v2, v7, 9, v0
	s_orn2_b64 s[0:1], vcc, exec
.LBB47_5:
	s_or_b64 exec, exec, s[18:19]
	s_and_b64 exec, exec, s[0:1]
	s_cbranch_execz .LBB47_8
; %bb.6:
	v_mov_b32_e32 v3, 0
	s_add_u32 s0, s20, s4
	v_lshlrev_b64 v[4:5], 2, v[2:3]
	s_addc_u32 s1, s21, s5
	v_mov_b32_e32 v1, s1
	v_add_co_u32_e32 v4, vcc, s0, v4
	v_addc_co_u32_e32 v5, vcc, v1, v5, vcc
	s_mov_b64 s[18:19], 0
.LBB47_7:                               ; =>This Inner Loop Header: Depth=1
	v_add_u32_e32 v2, 0x200, v2
	global_store_dword v[4:5], v3, off
	v_add_co_u32_e32 v4, vcc, 0x800, v4
	v_cmp_le_i32_e64 s[0:1], s7, v2
	s_or_b64 s[18:19], s[0:1], s[18:19]
	v_addc_co_u32_e32 v5, vcc, 0, v5, vcc
	s_andn2_b64 exec, exec, s[18:19]
	s_cbranch_execnz .LBB47_7
.LBB47_8:
	s_or_b64 exec, exec, s[12:13]
	s_mul_i32 s18, s24, s8
	v_cmp_gt_i32_e32 vcc, s18, v0
	s_waitcnt lgkmcnt(0)
	s_barrier
	s_and_saveexec_b64 s[12:13], vcc
	s_cbranch_execz .LBB47_13
; %bb.9:
	s_mov_b32 s1, 0
	s_mov_b32 s0, s9
	s_sub_i32 s19, 0, s8
	v_mad_u64_u32 v[2:3], s[8:9], v0, s9, 0
	v_lshlrev_b32_e32 v1, 2, v0
	s_lshl_b64 s[8:9], s[0:1], 9
	v_mov_b32_e32 v5, s17
	v_add_co_u32_e32 v4, vcc, s16, v1
	v_addc_co_u32_e32 v5, vcc, 0, v5, vcc
	s_mov_b64 s[16:17], 0
	v_mov_b32_e32 v7, 0
	v_mov_b32_e32 v1, s9
	;; [unrolled: 1-line block ×3, first 2 shown]
	s_branch .LBB47_11
.LBB47_10:                              ;   in Loop: Header=BB47_11 Depth=1
	s_or_b64 exec, exec, s[0:1]
	v_add_co_u32_e32 v2, vcc, s8, v2
	v_add_u32_e32 v8, 0x200, v8
	v_addc_co_u32_e32 v3, vcc, v3, v1, vcc
	v_add_co_u32_e32 v4, vcc, 0x800, v4
	v_cmp_le_i32_e64 s[0:1], s18, v8
	s_or_b64 s[16:17], s[0:1], s[16:17]
	v_addc_co_u32_e32 v5, vcc, 0, v5, vcc
	s_andn2_b64 exec, exec, s[16:17]
	s_cbranch_execz .LBB47_13
.LBB47_11:                              ; =>This Inner Loop Header: Depth=1
	global_load_dword v9, v[4:5], off
	v_add_u32_e32 v6, v8, v3
	v_lshrrev_b32_e32 v6, s10, v6
	v_cmp_gt_i32_e64 s[0:1], s24, v6
	s_waitcnt vmcnt(0)
	v_cmp_eq_u32_e32 vcc, s6, v9
	s_and_b64 s[22:23], vcc, s[0:1]
	s_and_saveexec_b64 s[0:1], s[22:23]
	s_cbranch_execz .LBB47_10
; %bb.12:                               ;   in Loop: Header=BB47_11 Depth=1
	v_mul_lo_u32 v9, s19, v6
	v_lshlrev_b64 v[10:11], 2, v[6:7]
	v_add3_u32 v9, v8, v9, 1
	v_mov_b32_e32 v6, s26
	v_add_co_u32_e32 v10, vcc, s25, v10
	v_and_b32_e32 v9, 0xffff, v9
	v_addc_co_u32_e32 v11, vcc, v6, v11, vcc
	global_store_dword v[10:11], v9, off
	s_branch .LBB47_10
.LBB47_13:
	s_or_b64 exec, exec, s[12:13]
	s_cmp_eq_u32 s11, 0
	s_barrier
	s_cbranch_scc1 .LBB47_24
; %bb.14:
	s_cmp_lt_i32 s24, 1
	s_cbranch_scc1 .LBB47_19
; %bb.15:
	s_add_i32 s0, s7, 0x1ff
	s_ashr_i32 s1, s0, 31
	s_lshr_b32 s1, s1, 23
	s_add_i32 s0, s0, s1
	s_ashr_i32 s0, s0, 9
	v_mbcnt_lo_u32_b32 v2, -1, 0
	v_mbcnt_hi_u32_b32 v2, -1, v2
	s_max_i32 s6, s0, 1
	v_lshlrev_b32_e32 v2, 2, v2
	s_add_u32 s0, s20, s4
	v_xor_b32_e32 v4, 4, v2
	v_xor_b32_e32 v5, 8, v2
	;; [unrolled: 1-line block ×6, first 2 shown]
	v_lshlrev_b32_e32 v2, 2, v0
	s_addc_u32 s1, s21, s5
	v_mov_b32_e32 v3, s1
	v_add_co_u32_e32 v2, vcc, s0, v2
	v_mov_b32_e32 v1, 0
	v_addc_co_u32_e32 v3, vcc, 0, v3, vcc
	v_mov_b32_e32 v10, v0
	s_branch .LBB47_17
.LBB47_16:                              ;   in Loop: Header=BB47_17 Depth=1
	s_or_b64 exec, exec, s[0:1]
	s_waitcnt vmcnt(0)
	v_cmp_ne_u32_e32 vcc, 0, v11
	v_cndmask_b32_e64 v11, 0, 1, vcc
	ds_bpermute_b32 v11, v4, v11
	s_add_i32 s6, s6, -1
	s_cmp_eq_u32 s6, 0
	v_add_u32_e32 v10, 0x200, v10
	s_waitcnt lgkmcnt(0)
	v_addc_co_u32_e64 v12, s[0:1], 0, v11, vcc
	ds_bpermute_b32 v12, v5, v12
	s_waitcnt lgkmcnt(0)
	v_addc_co_u32_e32 v11, vcc, v12, v11, vcc
	ds_bpermute_b32 v12, v6, v11
	v_add_co_u32_e32 v2, vcc, 0x800, v2
	v_addc_co_u32_e32 v3, vcc, 0, v3, vcc
	s_waitcnt lgkmcnt(0)
	v_add_u32_e32 v11, v11, v12
	ds_bpermute_b32 v12, v7, v11
	s_waitcnt lgkmcnt(0)
	v_add_u32_e32 v11, v11, v12
	ds_bpermute_b32 v12, v8, v11
	s_waitcnt lgkmcnt(0)
	v_add_u32_e32 v11, v11, v12
	ds_bpermute_b32 v12, v9, v11
	s_waitcnt lgkmcnt(0)
	v_add3_u32 v1, v12, v1, v11
	s_cbranch_scc1 .LBB47_20
.LBB47_17:                              ; =>This Inner Loop Header: Depth=1
	v_cmp_gt_i32_e32 vcc, s7, v10
	v_mov_b32_e32 v11, 0
	s_and_saveexec_b64 s[0:1], vcc
	s_cbranch_execz .LBB47_16
; %bb.18:                               ;   in Loop: Header=BB47_17 Depth=1
	global_load_dword v11, v[2:3], off
	s_branch .LBB47_16
.LBB47_19:
	v_mov_b32_e32 v1, 0
.LBB47_20:
	v_and_b32_e32 v2, 63, v0
	v_cmp_eq_u32_e32 vcc, 0, v2
	s_and_saveexec_b64 s[0:1], vcc
	s_cbranch_execz .LBB47_22
; %bb.21:
	v_lshrrev_b32_e32 v2, 4, v0
	v_and_b32_e32 v2, 60, v2
	ds_write_b32 v2, v1
.LBB47_22:
	s_or_b64 exec, exec, s[0:1]
	v_cmp_eq_u32_e32 vcc, 0, v0
	s_waitcnt lgkmcnt(0)
	s_barrier
	s_and_saveexec_b64 s[0:1], vcc
	s_cbranch_execz .LBB47_24
; %bb.23:
	v_mov_b32_e32 v8, 0
	ds_read_b128 v[0:3], v8
	ds_read_b128 v[4:7], v8 offset:16
	s_add_u32 s0, s14, s2
	s_addc_u32 s1, s15, s3
	s_waitcnt lgkmcnt(1)
	v_add_u32_e32 v0, v1, v0
	v_add_u32_e32 v0, v0, v2
	;; [unrolled: 1-line block ×3, first 2 shown]
	s_waitcnt lgkmcnt(0)
	v_add_u32_e32 v0, v0, v4
	v_add_u32_e32 v0, v0, v5
	;; [unrolled: 1-line block ×4, first 2 shown]
	global_store_dword v8, v0, s[0:1]
.LBB47_24:
	s_endpgm
	.section	.rodata,"a",@progbits
	.p2align	6, 0x0
	.amdhsa_kernel _ZN5aiter22opus_moe_sorting_entryINS_32MoeSortingMultiPhaseKernel_P0_v2INS_19MoeSortingProblemMpIifiLi1ELb1ELb1ELb1EEEEENS4_5KargsEEEvT0_
		.amdhsa_group_segment_fixed_size 32
		.amdhsa_private_segment_fixed_size 0
		.amdhsa_kernarg_size 72
		.amdhsa_user_sgpr_count 6
		.amdhsa_user_sgpr_private_segment_buffer 1
		.amdhsa_user_sgpr_dispatch_ptr 0
		.amdhsa_user_sgpr_queue_ptr 0
		.amdhsa_user_sgpr_kernarg_segment_ptr 1
		.amdhsa_user_sgpr_dispatch_id 0
		.amdhsa_user_sgpr_flat_scratch_init 0
		.amdhsa_user_sgpr_kernarg_preload_length 0
		.amdhsa_user_sgpr_kernarg_preload_offset 0
		.amdhsa_user_sgpr_private_segment_size 0
		.amdhsa_uses_dynamic_stack 0
		.amdhsa_system_sgpr_private_segment_wavefront_offset 0
		.amdhsa_system_sgpr_workgroup_id_x 1
		.amdhsa_system_sgpr_workgroup_id_y 0
		.amdhsa_system_sgpr_workgroup_id_z 0
		.amdhsa_system_sgpr_workgroup_info 0
		.amdhsa_system_vgpr_workitem_id 0
		.amdhsa_next_free_vgpr 18
		.amdhsa_next_free_sgpr 27
		.amdhsa_accum_offset 20
		.amdhsa_reserve_vcc 1
		.amdhsa_reserve_flat_scratch 0
		.amdhsa_float_round_mode_32 0
		.amdhsa_float_round_mode_16_64 0
		.amdhsa_float_denorm_mode_32 3
		.amdhsa_float_denorm_mode_16_64 3
		.amdhsa_dx10_clamp 1
		.amdhsa_ieee_mode 1
		.amdhsa_fp16_overflow 0
		.amdhsa_tg_split 0
		.amdhsa_exception_fp_ieee_invalid_op 0
		.amdhsa_exception_fp_denorm_src 0
		.amdhsa_exception_fp_ieee_div_zero 0
		.amdhsa_exception_fp_ieee_overflow 0
		.amdhsa_exception_fp_ieee_underflow 0
		.amdhsa_exception_fp_ieee_inexact 0
		.amdhsa_exception_int_div_zero 0
	.end_amdhsa_kernel
	.section	.text._ZN5aiter22opus_moe_sorting_entryINS_32MoeSortingMultiPhaseKernel_P0_v2INS_19MoeSortingProblemMpIifiLi1ELb1ELb1ELb1EEEEENS4_5KargsEEEvT0_,"axG",@progbits,_ZN5aiter22opus_moe_sorting_entryINS_32MoeSortingMultiPhaseKernel_P0_v2INS_19MoeSortingProblemMpIifiLi1ELb1ELb1ELb1EEEEENS4_5KargsEEEvT0_,comdat
.Lfunc_end47:
	.size	_ZN5aiter22opus_moe_sorting_entryINS_32MoeSortingMultiPhaseKernel_P0_v2INS_19MoeSortingProblemMpIifiLi1ELb1ELb1ELb1EEEEENS4_5KargsEEEvT0_, .Lfunc_end47-_ZN5aiter22opus_moe_sorting_entryINS_32MoeSortingMultiPhaseKernel_P0_v2INS_19MoeSortingProblemMpIifiLi1ELb1ELb1ELb1EEEEENS4_5KargsEEEvT0_
                                        ; -- End function
	.section	.AMDGPU.csdata,"",@progbits
; Kernel info:
; codeLenInByte = 1196
; NumSgprs: 31
; NumVgprs: 18
; NumAgprs: 0
; TotalNumVgprs: 18
; ScratchSize: 0
; MemoryBound: 0
; FloatMode: 240
; IeeeMode: 1
; LDSByteSize: 32 bytes/workgroup (compile time only)
; SGPRBlocks: 3
; VGPRBlocks: 2
; NumSGPRsForWavesPerEU: 31
; NumVGPRsForWavesPerEU: 18
; AccumOffset: 20
; Occupancy: 8
; WaveLimiterHint : 1
; COMPUTE_PGM_RSRC2:SCRATCH_EN: 0
; COMPUTE_PGM_RSRC2:USER_SGPR: 6
; COMPUTE_PGM_RSRC2:TRAP_HANDLER: 0
; COMPUTE_PGM_RSRC2:TGID_X_EN: 1
; COMPUTE_PGM_RSRC2:TGID_Y_EN: 0
; COMPUTE_PGM_RSRC2:TGID_Z_EN: 0
; COMPUTE_PGM_RSRC2:TIDIG_COMP_CNT: 0
; COMPUTE_PGM_RSRC3_GFX90A:ACCUM_OFFSET: 4
; COMPUTE_PGM_RSRC3_GFX90A:TG_SPLIT: 0
	.section	.text._ZN5aiter22opus_moe_sorting_entryINS_30MoeSortingMultiPhaseKernel_P23INS_19MoeSortingProblemMpIifiLi1ELb1ELb1ELb1EEEEENS4_5KargsEEEvT0_,"axG",@progbits,_ZN5aiter22opus_moe_sorting_entryINS_30MoeSortingMultiPhaseKernel_P23INS_19MoeSortingProblemMpIifiLi1ELb1ELb1ELb1EEEEENS4_5KargsEEEvT0_,comdat
	.protected	_ZN5aiter22opus_moe_sorting_entryINS_30MoeSortingMultiPhaseKernel_P23INS_19MoeSortingProblemMpIifiLi1ELb1ELb1ELb1EEEEENS4_5KargsEEEvT0_ ; -- Begin function _ZN5aiter22opus_moe_sorting_entryINS_30MoeSortingMultiPhaseKernel_P23INS_19MoeSortingProblemMpIifiLi1ELb1ELb1ELb1EEEEENS4_5KargsEEEvT0_
	.globl	_ZN5aiter22opus_moe_sorting_entryINS_30MoeSortingMultiPhaseKernel_P23INS_19MoeSortingProblemMpIifiLi1ELb1ELb1ELb1EEEEENS4_5KargsEEEvT0_
	.p2align	8
	.type	_ZN5aiter22opus_moe_sorting_entryINS_30MoeSortingMultiPhaseKernel_P23INS_19MoeSortingProblemMpIifiLi1ELb1ELb1ELb1EEEEENS4_5KargsEEEvT0_,@function
_ZN5aiter22opus_moe_sorting_entryINS_30MoeSortingMultiPhaseKernel_P23INS_19MoeSortingProblemMpIifiLi1ELb1ELb1ELb1EEEEENS4_5KargsEEEvT0_: ; @_ZN5aiter22opus_moe_sorting_entryINS_30MoeSortingMultiPhaseKernel_P23INS_19MoeSortingProblemMpIifiLi1ELb1ELb1ELb1EEEEENS4_5KargsEEEvT0_
; %bb.0:
	s_load_dwordx16 s[36:51], s[4:5], 0x0
	s_load_dword s7, s[4:5], 0x64
	s_load_dwordx8 s[20:27], s[4:5], 0x40
	s_mov_b64 s[0:1], -1
	s_waitcnt lgkmcnt(0)
	s_load_dword s33, s[42:43], 0x0
	s_cmp_lt_i32 s6, s7
	s_cbranch_scc1 .LBB48_5
; %bb.1:
	s_load_dwordx2 s[0:1], s[4:5], 0x84
	s_sub_i32 s8, s6, s7
	v_lshl_add_u32 v2, s8, 8, v0
	v_mov_b32_e32 v3, 0
	s_waitcnt lgkmcnt(0)
	s_ashr_i32 s2, s0, 31
	s_mul_hi_i32 s3, s1, s33
	s_mul_i32 s1, s1, s33
	s_mul_i32 s2, s1, s2
	s_mul_hi_u32 s9, s1, s0
	s_add_i32 s2, s9, s2
	s_mul_i32 s3, s3, s0
	s_add_i32 s2, s2, s3
	s_mul_i32 s1, s1, s0
	s_ashr_i32 s0, s2, 31
	s_lshr_b32 s0, s0, 28
	s_add_u32 s0, s1, s0
	s_addc_u32 s1, s2, 0
	s_ashr_i64 s[2:3], s[0:1], 4
	v_cmp_gt_i64_e32 vcc, s[2:3], v[2:3]
	s_and_saveexec_b64 s[8:9], vcc
	s_cbranch_execz .LBB48_4
; %bb.2:
	s_load_dword s0, s[4:5], 0x90
	v_lshlrev_b64 v[4:5], 4, v[2:3]
	v_mov_b32_e32 v1, s25
	v_add_co_u32_e32 v8, vcc, s24, v4
	s_waitcnt lgkmcnt(0)
	s_sub_i32 s0, s0, s7
	s_lshl_b32 s10, s0, 8
	s_ashr_i32 s11, s10, 31
	s_lshl_b64 s[12:13], s[10:11], 4
	v_pk_mov_b32 v[6:7], v[2:3], v[2:3] op_sel:[0,1]
	v_addc_co_u32_e32 v9, vcc, v1, v5, vcc
	s_mov_b64 s[14:15], 0
	v_mov_b32_e32 v2, v3
	v_mov_b32_e32 v4, v3
	;; [unrolled: 1-line block ×5, first 2 shown]
.LBB48_3:                               ; =>This Inner Loop Header: Depth=1
	v_add_co_u32_e32 v6, vcc, s10, v6
	v_addc_co_u32_e32 v7, vcc, v7, v1, vcc
	global_store_dwordx4 v[8:9], v[2:5], off
	v_add_co_u32_e32 v8, vcc, s12, v8
	v_cmp_le_i64_e64 s[0:1], s[2:3], v[6:7]
	s_or_b64 s[14:15], s[0:1], s[14:15]
	v_addc_co_u32_e32 v9, vcc, v9, v10, vcc
	s_andn2_b64 exec, exec, s[14:15]
	s_cbranch_execnz .LBB48_3
.LBB48_4:
	s_or_b64 exec, exec, s[8:9]
	s_mov_b64 s[0:1], 0
.LBB48_5:
	s_andn2_b64 vcc, exec, s[0:1]
	s_cbranch_vccnz .LBB48_62
; %bb.6:
	s_load_dwordx4 s[28:31], s[4:5], 0x6c
	s_lshl_b32 s0, s7, 2
	s_add_i32 s56, s0, 0
	s_add_i32 s56, s56, 48
	s_mov_b32 s57, 0
	v_lshrrev_b32_e32 v1, 6, v0
	s_cmp_lt_i32 s7, 1
	v_and_b32_e32 v8, 63, v0
	s_cbranch_scc1 .LBB48_29
; %bb.7:
	s_add_i32 s0, s7, 0xff
	s_lshr_b32 s58, s0, 8
	s_waitcnt lgkmcnt(0)
	s_add_i32 s59, s28, -1
	v_mbcnt_lo_u32_b32 v2, -1, 0
	v_mbcnt_hi_u32_b32 v2, -1, v2
	s_cmp_lg_u64 s[26:27], 0
	v_lshlrev_b32_e32 v3, 2, v2
	s_cselect_b64 s[16:17], -1, 0
	s_movk_i32 s14, 0xff
	v_and_b32_e32 v3, 0xc0, v3
	v_cmp_lt_u32_e64 s[0:1], 15, v2
	v_cmp_lt_u32_e64 s[2:3], 31, v2
	s_movk_i32 s10, 0x7f
	s_movk_i32 s12, 0xbf
	s_cmp_eq_u32 s6, 0
	v_cndmask_b32_e64 v2, 0, 1, s[16:17]
	v_mov_b32_e32 v9, 0
	v_add_u32_e32 v10, -4, v3
	v_add_u32_e32 v11, 0xffffffbc, v3
	v_cmp_eq_u32_e64 s[4:5], 63, v8
	v_lshl_add_u32 v12, v1, 2, 0
	v_cmp_gt_u32_e64 s[8:9], 64, v0
	v_cmp_lt_u32_e64 s[10:11], s10, v0
	v_cmp_lt_u32_e64 s[12:13], s12, v0
	v_cmp_eq_u32_e64 s[14:15], s14, v0
	s_cselect_b64 s[24:25], -1, 0
	s_add_i32 s60, s56, 4
	v_cmp_ne_u32_e64 s[16:17], 1, v2
	v_mov_b32_e32 v13, 0
	v_mov_b32_e32 v3, 0
.LBB48_8:                               ; =>This Loop Header: Depth=1
                                        ;     Child Loop BB48_21 Depth 2
                                        ;     Child Loop BB48_26 Depth 2
	v_lshl_add_u32 v6, s57, 8, v0
	v_cmp_gt_i32_e32 vcc, s7, v6
	v_mov_b32_e32 v5, 0
	v_mov_b32_e32 v2, 0
	s_and_saveexec_b64 s[34:35], vcc
	s_cbranch_execz .LBB48_10
; %bb.9:                                ;   in Loop: Header=BB48_8 Depth=1
	v_ashrrev_i32_e32 v7, 31, v6
	v_lshlrev_b64 v[4:5], 2, v[6:7]
	v_mov_b32_e32 v2, s47
	v_add_co_u32_e64 v14, s[18:19], s46, v4
	v_addc_co_u32_e64 v15, s[18:19], v2, v5, s[18:19]
	v_mov_b32_e32 v2, s41
	v_add_co_u32_e64 v4, s[18:19], s40, v4
	v_addc_co_u32_e64 v5, s[18:19], v2, v5, s[18:19]
	global_load_dword v2, v[14:15], off
	s_nop 0
	global_load_dword v5, v[4:5], off
.LBB48_10:                              ;   in Loop: Header=BB48_8 Depth=1
	s_or_b64 exec, exec, s[34:35]
	s_waitcnt vmcnt(1)
	v_add_u32_e32 v2, s59, v2
	v_mul_hi_u32 v4, v2, s29
	v_add_u32_e32 v2, v2, v4
	v_lshrrev_b32_e32 v14, s30, v2
	s_waitcnt vmcnt(0)
	v_cmp_eq_u32_e64 s[18:19], 0, v5
	v_cndmask_b32_e64 v7, v14, 0, s[18:19]
	v_add_u32_dpp v19, v5, v5 row_shr:1 row_mask:0xf bank_mask:0xf bound_ctrl:1
	s_nop 0
	v_mov_b32_dpp v15, v7 row_shr:1 row_mask:0xf bank_mask:0xf bound_ctrl:1
	v_add_u32_e32 v2, v7, v15
	v_add_u32_dpp v19, v19, v19 row_shr:2 row_mask:0xf bank_mask:0xf bound_ctrl:1
	s_barrier
	v_mov_b32_dpp v16, v2 row_shr:2 row_mask:0xf bank_mask:0xf bound_ctrl:1
	v_add_u32_e32 v2, v2, v16
	v_add_u32_dpp v19, v19, v19 row_shr:4 row_mask:0xf bank_mask:0xf bound_ctrl:1
	s_nop 0
	v_mov_b32_dpp v17, v2 row_shr:4 row_mask:0xf bank_mask:0xf bound_ctrl:1
	v_add_u32_e32 v2, v2, v17
	v_add_u32_dpp v20, v19, v19 row_shr:8 row_mask:0xf bank_mask:0xf bound_ctrl:1
	ds_bpermute_b32 v21, v10, v20
	v_mov_b32_dpp v18, v2 row_shr:8 row_mask:0xf bank_mask:0xf bound_ctrl:1
	v_add_u32_e32 v2, v2, v18
	ds_bpermute_b32 v4, v10, v2
	s_waitcnt lgkmcnt(1)
	v_cndmask_b32_e64 v21, 0, v21, s[0:1]
	v_add_u32_e32 v21, v21, v20
	ds_bpermute_b32 v22, v11, v21
	s_waitcnt lgkmcnt(1)
	v_cndmask_b32_e64 v19, 0, v4, s[0:1]
	;; [unrolled: 4-line block ×3, first 2 shown]
	v_cndmask_b32_e64 v4, 0, v22, s[2:3]
	v_add_u32_e32 v2, v2, v20
	v_add_u32_e32 v4, v4, v21
	s_and_saveexec_b64 s[34:35], s[4:5]
	s_cbranch_execz .LBB48_12
; %bb.11:                               ;   in Loop: Header=BB48_8 Depth=1
	ds_write2_b32 v12, v2, v4 offset0:4 offset1:8
.LBB48_12:                              ;   in Loop: Header=BB48_8 Depth=1
	s_or_b64 exec, exec, s[34:35]
	s_waitcnt lgkmcnt(0)
	s_barrier
	ds_read2_b32 v[22:23], v9 offset0:4 offset1:5
	ds_read2_b32 v[24:25], v9 offset0:8 offset1:9
	;; [unrolled: 1-line block ×3, first 2 shown]
	s_waitcnt lgkmcnt(2)
	v_cndmask_b32_e64 v21, v22, 0, s[8:9]
	s_waitcnt lgkmcnt(1)
	v_cndmask_b32_e64 v28, v24, 0, s[8:9]
	v_cndmask_b32_e64 v22, 0, v23, s[10:11]
	s_waitcnt lgkmcnt(0)
	v_cndmask_b32_e64 v23, 0, v26, s[12:13]
	v_add3_u32 v2, v2, v13, v21
	v_cndmask_b32_e64 v25, 0, v25, s[10:11]
	v_cndmask_b32_e64 v26, 0, v27, s[12:13]
	v_add3_u32 v24, v2, v22, v23
	v_add3_u32 v2, v4, v3, v28
	;; [unrolled: 1-line block ×3, first 2 shown]
	s_and_saveexec_b64 s[34:35], s[14:15]
	s_cbranch_execz .LBB48_14
; %bb.13:                               ;   in Loop: Header=BB48_8 Depth=1
	ds_write2_b32 v9, v24, v4 offset0:2 offset1:3
.LBB48_14:                              ;   in Loop: Header=BB48_8 Depth=1
	s_or_b64 exec, exec, s[34:35]
	s_waitcnt lgkmcnt(0)
	s_barrier
	ds_read2_b32 v[2:3], v9 offset0:2 offset1:3
	v_sub_u32_e32 v4, v4, v5
	s_and_saveexec_b64 s[34:35], vcc
	s_cbranch_execz .LBB48_17
; %bb.15:                               ;   in Loop: Header=BB48_8 Depth=1
	v_sub_u32_e32 v7, v24, v7
	v_mul_lo_u32 v7, v7, s28
	v_lshl_add_u32 v24, v6, 2, 0
	s_and_b64 vcc, exec, s[16:17]
	ds_write_b32 v24, v7 offset:48
	s_cbranch_vccnz .LBB48_17
; %bb.16:                               ;   in Loop: Header=BB48_8 Depth=1
	v_cndmask_b32_e64 v7, v4, -1, s[18:19]
	v_lshl_add_u32 v6, v6, 2, s60
	ds_write_b32 v6, v7
.LBB48_17:                              ;   in Loop: Header=BB48_8 Depth=1
	s_or_b64 exec, exec, s[34:35]
	v_cmp_ne_u32_e32 vcc, 0, v5
	s_and_b64 s[18:19], s[24:25], vcc
	v_cmp_lt_i32_e32 vcc, 0, v14
	s_and_b64 s[34:35], s[18:19], vcc
	s_and_saveexec_b64 s[18:19], s[34:35]
	s_cbranch_execz .LBB48_27
; %bb.18:                               ;   in Loop: Header=BB48_8 Depth=1
	v_cmp_gt_u32_e64 s[34:35], 10, v14
	v_cmp_lt_u32_e32 vcc, 9, v14
	v_mov_b32_e32 v24, 0
	s_and_saveexec_b64 s[42:43], vcc
	s_cbranch_execz .LBB48_24
; %bb.19:                               ;   in Loop: Header=BB48_8 Depth=1
	v_add_u32_e32 v5, v19, v20
	v_add3_u32 v5, v5, v22, v23
	v_add3_u32 v5, v5, v21, v15
	v_add3_u32 v5, v5, v16, v17
	v_add3_u32 v6, v5, v18, v13
	v_add3_u32 v5, v14, v6, -1
	v_cmp_ge_i32_e32 vcc, v5, v6
	s_mov_b64 s[54:55], -1
	v_mov_b32_e32 v24, 0
	s_and_saveexec_b64 s[52:53], vcc
	s_cbranch_execz .LBB48_23
; %bb.20:                               ;   in Loop: Header=BB48_8 Depth=1
	v_and_b32_e32 v24, 0x7ffffffe, v14
	v_mov_b32_e32 v5, v4
	s_mov_b64 s[54:55], 0
	v_mov_b32_e32 v25, v24
.LBB48_21:                              ;   Parent Loop BB48_8 Depth=1
                                        ; =>  This Inner Loop Header: Depth=2
	v_ashrrev_i32_e32 v7, 31, v6
	v_lshlrev_b64 v[26:27], 2, v[6:7]
	v_mov_b32_e32 v7, s51
	v_add_co_u32_e32 v26, vcc, s50, v26
	v_addc_co_u32_e32 v27, vcc, v7, v27, vcc
	v_add_u32_e32 v25, -2, v25
	v_cmp_eq_u32_e32 vcc, 0, v25
	s_or_b64 s[54:55], vcc, s[54:55]
	v_add_u32_e32 v6, 2, v6
	global_store_dwordx2 v[26:27], v[4:5], off
	s_andn2_b64 exec, exec, s[54:55]
	s_cbranch_execnz .LBB48_21
; %bb.22:                               ;   in Loop: Header=BB48_8 Depth=1
	s_or_b64 exec, exec, s[54:55]
	v_cmp_ne_u32_e32 vcc, v14, v24
	s_orn2_b64 s[54:55], vcc, exec
.LBB48_23:                              ;   in Loop: Header=BB48_8 Depth=1
	s_or_b64 exec, exec, s[52:53]
	s_andn2_b64 s[34:35], s[34:35], exec
	s_and_b64 s[52:53], s[54:55], exec
	s_or_b64 s[34:35], s[34:35], s[52:53]
.LBB48_24:                              ;   in Loop: Header=BB48_8 Depth=1
	s_or_b64 exec, exec, s[42:43]
	s_and_b64 exec, exec, s[34:35]
	s_cbranch_execz .LBB48_27
; %bb.25:                               ;   in Loop: Header=BB48_8 Depth=1
	v_add3_u32 v6, v13, v19, v20
	v_add3_u32 v6, v6, v22, v23
	;; [unrolled: 1-line block ×4, first 2 shown]
	v_sub_u32_e32 v5, v14, v24
	v_add3_u32 v6, v6, v18, v24
	s_mov_b64 s[34:35], 0
.LBB48_26:                              ;   Parent Loop BB48_8 Depth=1
                                        ; =>  This Inner Loop Header: Depth=2
	v_ashrrev_i32_e32 v7, 31, v6
	v_lshlrev_b64 v[14:15], 2, v[6:7]
	v_mov_b32_e32 v7, s51
	v_add_co_u32_e32 v14, vcc, s50, v14
	v_addc_co_u32_e32 v15, vcc, v7, v15, vcc
	v_add_u32_e32 v5, -1, v5
	v_cmp_eq_u32_e32 vcc, 0, v5
	s_or_b64 s[34:35], vcc, s[34:35]
	v_add_u32_e32 v6, 1, v6
	global_store_dword v[14:15], v4, off
	s_andn2_b64 exec, exec, s[34:35]
	s_cbranch_execnz .LBB48_26
.LBB48_27:                              ;   in Loop: Header=BB48_8 Depth=1
	s_or_b64 exec, exec, s[18:19]
	s_add_i32 s57, s57, 1
	s_cmp_eq_u32 s57, s58
	s_cbranch_scc1 .LBB48_30
; %bb.28:                               ;   in Loop: Header=BB48_8 Depth=1
	s_waitcnt lgkmcnt(0)
	v_mov_b32_e32 v13, v2
	s_branch .LBB48_8
.LBB48_29:
	v_mov_b32_e32 v2, 0
.LBB48_30:
	v_cmp_eq_u32_e32 vcc, 0, v0
	s_and_saveexec_b64 s[0:1], vcc
	s_cbranch_execz .LBB48_34
; %bb.31:
	s_cmp_lg_u32 s6, 0
	s_waitcnt lgkmcnt(0)
	v_mul_lo_u32 v2, v2, s28
	s_cbranch_scc1 .LBB48_33
; %bb.32:
	v_mov_b32_e32 v4, 0
	v_mov_b32_e32 v3, s33
	global_store_dwordx2 v4, v[2:3], s[48:49]
.LBB48_33:
	v_mov_b32_e32 v3, s56
	ds_write_b32 v3, v2
.LBB48_34:
	s_or_b64 exec, exec, s[0:1]
	s_cmp_eq_u64 s[26:27], 0
	s_cselect_b64 s[0:1], -1, 0
	s_cmp_lg_u32 s6, 0
	s_cselect_b64 s[2:3], -1, 0
	s_or_b64 s[0:1], s[2:3], s[0:1]
	s_and_b64 vcc, exec, s[0:1]
	s_waitcnt lgkmcnt(0)
	s_barrier
	s_cbranch_vccnz .LBB48_41
; %bb.35:
	s_mul_i32 s8, s33, s31
	v_cmp_gt_i32_e32 vcc, s8, v0
	s_and_saveexec_b64 s[2:3], vcc
	s_cbranch_execz .LBB48_40
; %bb.36:
	v_lshlrev_b32_e32 v4, 2, v0
	v_mov_b32_e32 v3, s37
	v_add_co_u32_e32 v2, vcc, s36, v4
	v_addc_co_u32_e32 v3, vcc, 0, v3, vcc
	v_mov_b32_e32 v5, s27
	v_add_co_u32_e32 v4, vcc, s26, v4
	s_add_i32 s56, s56, 4
	v_addc_co_u32_e32 v5, vcc, 0, v5, vcc
	s_mov_b64 s[4:5], 0
	v_mov_b32_e32 v6, v0
	s_branch .LBB48_38
.LBB48_37:                              ;   in Loop: Header=BB48_38 Depth=1
	s_or_b64 exec, exec, s[0:1]
	v_add_co_u32_e32 v2, vcc, 0x400, v2
	v_add_u32_e32 v6, 0x100, v6
	v_addc_co_u32_e32 v3, vcc, 0, v3, vcc
	s_waitcnt lgkmcnt(0)
	global_store_dword v[4:5], v9, off
	v_add_co_u32_e32 v4, vcc, 0x400, v4
	v_cmp_le_i32_e64 s[0:1], s8, v6
	s_or_b64 s[4:5], s[0:1], s[4:5]
	v_addc_co_u32_e32 v5, vcc, 0, v5, vcc
	s_andn2_b64 exec, exec, s[4:5]
	s_cbranch_execz .LBB48_40
.LBB48_38:                              ; =>This Inner Loop Header: Depth=1
	global_load_dword v7, v[2:3], off
	v_mov_b32_e32 v9, -1
	s_waitcnt vmcnt(0)
	v_cmp_lt_i32_e32 vcc, -1, v7
	v_cmp_gt_i32_e64 s[0:1], s7, v7
	s_and_b64 s[10:11], vcc, s[0:1]
	s_and_saveexec_b64 s[0:1], s[10:11]
	s_cbranch_execz .LBB48_37
; %bb.39:                               ;   in Loop: Header=BB48_38 Depth=1
	v_lshl_add_u32 v7, v7, 2, s56
	ds_read_b32 v9, v7
	s_branch .LBB48_37
.LBB48_40:
	s_or_b64 exec, exec, s[2:3]
.LBB48_41:
	s_lshl_b32 s0, s6, 2
	s_add_i32 s0, s0, 0
	v_mov_b32_e32 v2, s0
	ds_read2_b32 v[2:3], v2 offset0:12 offset1:13
	s_waitcnt lgkmcnt(0)
	v_cmp_eq_u32_e32 vcc, v2, v3
	s_cbranch_vccnz .LBB48_62
; %bb.42:
	s_ashr_i32 s7, s6, 31
	s_lshl_b64 s[0:1], s[6:7], 2
	s_add_u32 s0, s40, s0
	s_addc_u32 s1, s41, s1
	v_mov_b32_e32 v5, 0
	global_load_dword v4, v5, s[0:1]
	s_waitcnt vmcnt(0)
	v_cmp_eq_u32_e32 vcc, 0, v4
	s_cbranch_vccnz .LBB48_62
; %bb.43:
	s_cmp_lt_i32 s33, 1
	s_cbranch_scc1 .LBB48_54
; %bb.44:
	s_add_i32 s0, s33, 31
	s_and_b32 s0, s0, 0x7fffffe0
	s_add_i32 s1, s0, 0xff
	s_mul_i32 s0, s0, s6
	v_mbcnt_lo_u32_b32 v4, -1, 0
	s_lshr_b32 s16, s1, 8
	s_ashr_i32 s1, s0, 31
	v_mbcnt_hi_u32_b32 v4, -1, v4
	s_lshl_b64 s[0:1], s[0:1], 2
	v_lshlrev_b32_e32 v5, 2, v4
	s_add_u32 s17, s44, s0
	v_and_b32_e32 v5, 0xc0, v5
	s_movk_i32 s10, 0xff
	s_addc_u32 s18, s45, s1
	v_add_u32_e32 v11, -4, v5
	v_cmp_lt_u32_e32 vcc, 15, v4
	v_add_u32_e32 v12, 0xffffffbc, v5
	v_cmp_lt_u32_e64 s[0:1], 31, v4
	s_movk_i32 s6, 0x7f
	s_movk_i32 s8, 0xbf
	v_mad_u64_u32 v[4:5], s[12:13], v0, s31, -1
	v_mov_b32_e32 v10, 0
	v_cmp_eq_u32_e64 s[2:3], 63, v8
	v_lshl_add_u32 v1, v1, 2, 0
	v_cmp_gt_u32_e64 s[4:5], 64, v0
	v_cmp_lt_u32_e64 s[6:7], s6, v0
	v_cmp_lt_u32_e64 s[8:9], s8, v0
	v_cmp_eq_u32_e64 s[10:11], s10, v0
	s_lshl_b32 s19, s31, 8
	s_mov_b32 s24, 0x4020100
	v_mov_b32_e32 v7, 0
	v_mov_b32_e32 v8, v0
	v_mov_b32_e32 v5, 0
	s_branch .LBB48_46
.LBB48_45:                              ;   in Loop: Header=BB48_46 Depth=1
	s_or_b64 exec, exec, s[14:15]
	s_add_i32 s16, s16, -1
	v_add_u32_e32 v8, 0x100, v8
	s_cmp_eq_u32 s16, 0
	v_add_u32_e32 v4, s19, v4
	s_cbranch_scc1 .LBB48_54
.LBB48_46:                              ; =>This Inner Loop Header: Depth=1
	v_cmp_gt_i32_e64 s[12:13], s33, v8
	v_mov_b32_e32 v6, 0
	s_and_saveexec_b64 s[14:15], s[12:13]
	s_cbranch_execz .LBB48_48
; %bb.47:                               ;   in Loop: Header=BB48_46 Depth=1
	v_ashrrev_i32_e32 v9, 31, v8
	v_lshlrev_b64 v[14:15], 2, v[8:9]
	v_mov_b32_e32 v6, s18
	v_add_co_u32_e64 v14, s[12:13], s17, v14
	v_addc_co_u32_e64 v15, s[12:13], v6, v15, s[12:13]
	global_load_dword v6, v[14:15], off
.LBB48_48:                              ;   in Loop: Header=BB48_46 Depth=1
	s_or_b64 exec, exec, s[14:15]
	s_waitcnt vmcnt(0)
	v_add_co_u32_e64 v9, s[12:13], -1, v6
	v_cndmask_b32_e64 v13, 0, 1, s[12:13]
	s_barrier
	s_nop 0
	v_mov_b32_dpp v14, v13 row_shr:1 row_mask:0xf bank_mask:0xf bound_ctrl:1
	v_addc_co_u32_e64 v15, s[14:15], 0, v14, s[12:13]
	s_nop 1
	v_mov_b32_dpp v15, v15 row_shr:2 row_mask:0xf bank_mask:0xf bound_ctrl:1
	v_addc_co_u32_e64 v14, s[14:15], v15, v14, s[12:13]
	s_nop 1
	v_add_u32_dpp v14, v14, v14 row_shr:4 row_mask:0xf bank_mask:0xf bound_ctrl:1
	s_nop 1
	v_add_u32_dpp v14, v14, v14 row_shr:8 row_mask:0xf bank_mask:0xf bound_ctrl:1
	ds_bpermute_b32 v15, v11, v14
	s_waitcnt lgkmcnt(0)
	v_cndmask_b32_e32 v15, 0, v15, vcc
	v_add_u32_e32 v14, v14, v15
	ds_bpermute_b32 v15, v12, v14
	s_waitcnt lgkmcnt(0)
	v_cndmask_b32_e64 v15, 0, v15, s[0:1]
	v_add_u32_e32 v14, v14, v15
	s_and_saveexec_b64 s[14:15], s[2:3]
	s_cbranch_execz .LBB48_50
; %bb.49:                               ;   in Loop: Header=BB48_46 Depth=1
	ds_write_b32 v1, v14 offset:16
.LBB48_50:                              ;   in Loop: Header=BB48_46 Depth=1
	s_or_b64 exec, exec, s[14:15]
	s_waitcnt lgkmcnt(0)
	s_barrier
	ds_read2_b32 v[16:17], v10 offset0:4 offset1:5
	ds_read_b32 v15, v10 offset:24
	s_waitcnt lgkmcnt(1)
	v_cndmask_b32_e64 v16, v16, 0, s[4:5]
	v_cndmask_b32_e64 v17, 0, v17, s[6:7]
	s_waitcnt lgkmcnt(0)
	v_cndmask_b32_e64 v15, 0, v15, s[8:9]
	v_add3_u32 v5, v14, v5, v16
	v_add3_u32 v14, v5, v17, v15
	s_and_saveexec_b64 s[14:15], s[10:11]
	s_cbranch_execz .LBB48_52
; %bb.51:                               ;   in Loop: Header=BB48_46 Depth=1
	ds_write_b32 v10, v14
.LBB48_52:                              ;   in Loop: Header=BB48_46 Depth=1
	s_or_b64 exec, exec, s[14:15]
	s_waitcnt lgkmcnt(0)
	s_barrier
	ds_read_b32 v5, v10
	s_and_saveexec_b64 s[14:15], s[12:13]
	s_cbranch_execz .LBB48_45
; %bb.53:                               ;   in Loop: Header=BB48_46 Depth=1
	v_add_u32_e32 v6, v6, v4
	v_lshlrev_b64 v[16:17], 2, v[6:7]
	v_mov_b32_e32 v6, s39
	v_add_co_u32_e64 v16, s[12:13], s38, v16
	v_addc_co_u32_e64 v17, s[12:13], v6, v17, s[12:13]
	global_load_dword v6, v[16:17], off
	v_sub_u32_e32 v13, v2, v13
	v_add_u32_e32 v14, v13, v14
	v_ashrrev_i32_e32 v15, 31, v14
	v_lshlrev_b64 v[14:15], 2, v[14:15]
	v_mov_b32_e32 v13, s21
	v_add_co_u32_e64 v16, s[12:13], s20, v14
	v_perm_b32 v9, v9, v8, s24
	v_addc_co_u32_e64 v17, s[12:13], v13, v15, s[12:13]
	global_store_dword v[16:17], v9, off
	v_mov_b32_e32 v9, s23
	v_add_co_u32_e64 v14, s[12:13], s22, v14
	v_addc_co_u32_e64 v15, s[12:13], v9, v15, s[12:13]
	s_waitcnt vmcnt(1)
	global_store_dword v[14:15], v6, off
	s_branch .LBB48_45
.LBB48_54:
	s_waitcnt lgkmcnt(0)
	v_add_u32_e32 v1, v5, v2
	v_add_u32_e32 v4, v1, v0
	v_cmp_lt_i32_e32 vcc, v4, v3
	s_and_saveexec_b64 s[0:1], vcc
	s_cbranch_execz .LBB48_62
; %bb.55:
	v_add_u32_e32 v5, 0x100, v4
	v_max_i32_e32 v2, v3, v5
	s_and_b32 s0, s33, 0xffffff
	s_lshl_b32 s1, s31, 24
	v_xad_u32 v0, v0, -1, v2
	s_or_b32 s6, s0, s1
	v_sub_u32_e32 v0, v0, v1
	s_movk_i32 s0, 0xff
	v_cmp_lt_u32_e32 vcc, s0, v0
	s_mov_b64 s[0:1], -1
	s_and_saveexec_b64 s[2:3], vcc
	s_cbranch_execz .LBB48_59
; %bb.56:
	v_lshrrev_b32_e32 v0, 8, v0
	v_add_u32_e32 v2, 1, v0
	v_and_b32_e32 v6, 0x1fffffe, v2
	s_mov_b64 s[4:5], 0
	v_mov_b32_e32 v7, s21
	v_mov_b32_e32 v8, s6
	;; [unrolled: 1-line block ×5, first 2 shown]
	v_pk_mov_b32 v[0:1], v[4:5], v[4:5] op_sel:[0,1]
.LBB48_57:                              ; =>This Inner Loop Header: Depth=1
	v_ashrrev_i32_e32 v15, 31, v0
	v_mov_b32_e32 v14, v0
	v_lshlrev_b64 v[14:15], 2, v[14:15]
	v_ashrrev_i32_e32 v13, 31, v1
	v_mov_b32_e32 v12, v1
	v_add_co_u32_e64 v16, s[0:1], s20, v14
	v_lshlrev_b64 v[12:13], 2, v[12:13]
	v_addc_co_u32_e64 v17, s[0:1], v7, v15, s[0:1]
	v_add_co_u32_e64 v18, s[0:1], s20, v12
	v_addc_co_u32_e64 v19, s[0:1], v7, v13, s[0:1]
	v_add_u32_e32 v11, -2, v11
	v_add_co_u32_e64 v14, s[0:1], s22, v14
	v_cmp_eq_u32_e32 vcc, 0, v11
	v_addc_co_u32_e64 v15, s[0:1], v9, v15, s[0:1]
	v_add_u32_e32 v1, 0x200, v1
	v_add_u32_e32 v0, 0x200, v0
	v_add_co_u32_e64 v12, s[0:1], s22, v12
	s_or_b64 s[4:5], vcc, s[4:5]
	v_addc_co_u32_e64 v13, s[0:1], v9, v13, s[0:1]
	global_store_dword v[16:17], v8, off
	global_store_dword v[18:19], v8, off
	;; [unrolled: 1-line block ×4, first 2 shown]
	s_andn2_b64 exec, exec, s[4:5]
	s_cbranch_execnz .LBB48_57
; %bb.58:
	s_or_b64 exec, exec, s[4:5]
	v_cmp_ne_u32_e32 vcc, v2, v6
	v_lshl_add_u32 v4, v6, 8, v4
	s_orn2_b64 s[0:1], vcc, exec
.LBB48_59:
	s_or_b64 exec, exec, s[2:3]
	s_and_b64 exec, exec, s[0:1]
	s_cbranch_execz .LBB48_62
; %bb.60:
	v_ashrrev_i32_e32 v5, 31, v4
	v_lshlrev_b64 v[6:7], 2, v[4:5]
	v_mov_b32_e32 v1, s21
	v_add_co_u32_e32 v0, vcc, s20, v6
	v_addc_co_u32_e32 v1, vcc, v1, v7, vcc
	v_mov_b32_e32 v2, s23
	v_add_co_u32_e32 v6, vcc, s22, v6
	v_addc_co_u32_e32 v7, vcc, v2, v7, vcc
	s_mov_b64 s[2:3], 0
	v_mov_b32_e32 v2, s6
	v_mov_b32_e32 v5, 0
.LBB48_61:                              ; =>This Inner Loop Header: Depth=1
	global_store_dword v[0:1], v2, off
	global_store_dword v[6:7], v5, off
	v_add_co_u32_e32 v0, vcc, 0x400, v0
	v_add_u32_e32 v4, 0x100, v4
	v_addc_co_u32_e32 v1, vcc, 0, v1, vcc
	v_add_co_u32_e32 v6, vcc, 0x400, v6
	v_cmp_ge_i32_e64 s[0:1], v4, v3
	s_or_b64 s[2:3], s[0:1], s[2:3]
	v_addc_co_u32_e32 v7, vcc, 0, v7, vcc
	s_andn2_b64 exec, exec, s[2:3]
	s_cbranch_execnz .LBB48_61
.LBB48_62:
	s_endpgm
	.section	.rodata,"a",@progbits
	.p2align	6, 0x0
	.amdhsa_kernel _ZN5aiter22opus_moe_sorting_entryINS_30MoeSortingMultiPhaseKernel_P23INS_19MoeSortingProblemMpIifiLi1ELb1ELb1ELb1EEEEENS4_5KargsEEEvT0_
		.amdhsa_group_segment_fixed_size 0
		.amdhsa_private_segment_fixed_size 0
		.amdhsa_kernarg_size 400
		.amdhsa_user_sgpr_count 6
		.amdhsa_user_sgpr_private_segment_buffer 1
		.amdhsa_user_sgpr_dispatch_ptr 0
		.amdhsa_user_sgpr_queue_ptr 0
		.amdhsa_user_sgpr_kernarg_segment_ptr 1
		.amdhsa_user_sgpr_dispatch_id 0
		.amdhsa_user_sgpr_flat_scratch_init 0
		.amdhsa_user_sgpr_kernarg_preload_length 0
		.amdhsa_user_sgpr_kernarg_preload_offset 0
		.amdhsa_user_sgpr_private_segment_size 0
		.amdhsa_uses_dynamic_stack 0
		.amdhsa_system_sgpr_private_segment_wavefront_offset 0
		.amdhsa_system_sgpr_workgroup_id_x 1
		.amdhsa_system_sgpr_workgroup_id_y 0
		.amdhsa_system_sgpr_workgroup_id_z 0
		.amdhsa_system_sgpr_workgroup_info 0
		.amdhsa_system_vgpr_workitem_id 0
		.amdhsa_next_free_vgpr 29
		.amdhsa_next_free_sgpr 61
		.amdhsa_accum_offset 32
		.amdhsa_reserve_vcc 1
		.amdhsa_reserve_flat_scratch 0
		.amdhsa_float_round_mode_32 0
		.amdhsa_float_round_mode_16_64 0
		.amdhsa_float_denorm_mode_32 3
		.amdhsa_float_denorm_mode_16_64 3
		.amdhsa_dx10_clamp 1
		.amdhsa_ieee_mode 1
		.amdhsa_fp16_overflow 0
		.amdhsa_tg_split 0
		.amdhsa_exception_fp_ieee_invalid_op 0
		.amdhsa_exception_fp_denorm_src 0
		.amdhsa_exception_fp_ieee_div_zero 0
		.amdhsa_exception_fp_ieee_overflow 0
		.amdhsa_exception_fp_ieee_underflow 0
		.amdhsa_exception_fp_ieee_inexact 0
		.amdhsa_exception_int_div_zero 0
	.end_amdhsa_kernel
	.section	.text._ZN5aiter22opus_moe_sorting_entryINS_30MoeSortingMultiPhaseKernel_P23INS_19MoeSortingProblemMpIifiLi1ELb1ELb1ELb1EEEEENS4_5KargsEEEvT0_,"axG",@progbits,_ZN5aiter22opus_moe_sorting_entryINS_30MoeSortingMultiPhaseKernel_P23INS_19MoeSortingProblemMpIifiLi1ELb1ELb1ELb1EEEEENS4_5KargsEEEvT0_,comdat
.Lfunc_end48:
	.size	_ZN5aiter22opus_moe_sorting_entryINS_30MoeSortingMultiPhaseKernel_P23INS_19MoeSortingProblemMpIifiLi1ELb1ELb1ELb1EEEEENS4_5KargsEEEvT0_, .Lfunc_end48-_ZN5aiter22opus_moe_sorting_entryINS_30MoeSortingMultiPhaseKernel_P23INS_19MoeSortingProblemMpIifiLi1ELb1ELb1ELb1EEEEENS4_5KargsEEEvT0_
                                        ; -- End function
	.section	.AMDGPU.csdata,"",@progbits
; Kernel info:
; codeLenInByte = 2968
; NumSgprs: 65
; NumVgprs: 29
; NumAgprs: 0
; TotalNumVgprs: 29
; ScratchSize: 0
; MemoryBound: 0
; FloatMode: 240
; IeeeMode: 1
; LDSByteSize: 0 bytes/workgroup (compile time only)
; SGPRBlocks: 8
; VGPRBlocks: 3
; NumSGPRsForWavesPerEU: 65
; NumVGPRsForWavesPerEU: 29
; AccumOffset: 32
; Occupancy: 8
; WaveLimiterHint : 1
; COMPUTE_PGM_RSRC2:SCRATCH_EN: 0
; COMPUTE_PGM_RSRC2:USER_SGPR: 6
; COMPUTE_PGM_RSRC2:TRAP_HANDLER: 0
; COMPUTE_PGM_RSRC2:TGID_X_EN: 1
; COMPUTE_PGM_RSRC2:TGID_Y_EN: 0
; COMPUTE_PGM_RSRC2:TGID_Z_EN: 0
; COMPUTE_PGM_RSRC2:TIDIG_COMP_CNT: 0
; COMPUTE_PGM_RSRC3_GFX90A:ACCUM_OFFSET: 7
; COMPUTE_PGM_RSRC3_GFX90A:TG_SPLIT: 0
	.section	.text._ZN5aiter22opus_moe_sorting_entryINS_32MoeSortingMultiPhaseKernel_P0_v2INS_19MoeSortingProblemMpIifiLi1ELb1ELb0ELb1EEEEENS4_5KargsEEEvT0_,"axG",@progbits,_ZN5aiter22opus_moe_sorting_entryINS_32MoeSortingMultiPhaseKernel_P0_v2INS_19MoeSortingProblemMpIifiLi1ELb1ELb0ELb1EEEEENS4_5KargsEEEvT0_,comdat
	.protected	_ZN5aiter22opus_moe_sorting_entryINS_32MoeSortingMultiPhaseKernel_P0_v2INS_19MoeSortingProblemMpIifiLi1ELb1ELb0ELb1EEEEENS4_5KargsEEEvT0_ ; -- Begin function _ZN5aiter22opus_moe_sorting_entryINS_32MoeSortingMultiPhaseKernel_P0_v2INS_19MoeSortingProblemMpIifiLi1ELb1ELb0ELb1EEEEENS4_5KargsEEEvT0_
	.globl	_ZN5aiter22opus_moe_sorting_entryINS_32MoeSortingMultiPhaseKernel_P0_v2INS_19MoeSortingProblemMpIifiLi1ELb1ELb0ELb1EEEEENS4_5KargsEEEvT0_
	.p2align	8
	.type	_ZN5aiter22opus_moe_sorting_entryINS_32MoeSortingMultiPhaseKernel_P0_v2INS_19MoeSortingProblemMpIifiLi1ELb1ELb0ELb1EEEEENS4_5KargsEEEvT0_,@function
_ZN5aiter22opus_moe_sorting_entryINS_32MoeSortingMultiPhaseKernel_P0_v2INS_19MoeSortingProblemMpIifiLi1ELb1ELb0ELb1EEEEENS4_5KargsEEEvT0_: ; @_ZN5aiter22opus_moe_sorting_entryINS_32MoeSortingMultiPhaseKernel_P0_v2INS_19MoeSortingProblemMpIifiLi1ELb1ELb0ELb1EEEEENS4_5KargsEEEvT0_
; %bb.0:
	s_load_dwordx4 s[8:11], s[4:5], 0x18
	s_load_dwordx2 s[2:3], s[4:5], 0x10
	s_load_dword s7, s[4:5], 0x28
	s_waitcnt lgkmcnt(0)
	s_mul_i32 s0, s9, s6
	s_ashr_i32 s1, s0, 31
	s_lshl_b64 s[12:13], s[0:1], 2
	s_add_u32 s20, s2, s12
	s_addc_u32 s21, s3, s13
	v_cmp_gt_i32_e32 vcc, s9, v0
	s_and_saveexec_b64 s[14:15], vcc
	s_cbranch_execz .LBB49_8
; %bb.1:
	v_xad_u32 v1, v0, -1, s9
	s_movk_i32 s0, 0x5ff
	v_cmp_lt_u32_e32 vcc, s0, v1
	s_mov_b64 s[0:1], -1
	v_mov_b32_e32 v2, v0
	s_and_saveexec_b64 s[16:17], vcc
	s_cbranch_execz .LBB49_5
; %bb.2:
	v_lshrrev_b32_e32 v1, 9, v1
	v_add_u32_e32 v6, 1, v1
	v_and_b32_e32 v7, 0xfffffc, v6
	v_add_u32_e32 v1, 0x200, v0
	s_mov_b64 s[18:19], 0
	v_mov_b32_e32 v8, s21
	v_mov_b32_e32 v3, 0
	;; [unrolled: 1-line block ×3, first 2 shown]
	v_pk_mov_b32 v[4:5], v[0:1], v[0:1] op_sel:[0,1]
.LBB49_3:                               ; =>This Inner Loop Header: Depth=1
	v_mov_b32_e32 v2, v4
	v_lshlrev_b64 v[14:15], 2, v[2:3]
	v_add_u32_e32 v12, 0x400, v4
	v_mov_b32_e32 v13, v3
	v_add_co_u32_e64 v14, s[0:1], s20, v14
	v_lshlrev_b64 v[12:13], 2, v[12:13]
	v_addc_co_u32_e64 v15, s[0:1], v8, v15, s[0:1]
	v_add_u32_e32 v10, 0x400, v5
	v_mov_b32_e32 v11, v3
	v_add_u32_e32 v9, -4, v9
	v_mov_b32_e32 v2, v5
	v_add_co_u32_e64 v12, s[0:1], s20, v12
	v_lshlrev_b64 v[10:11], 2, v[10:11]
	v_cmp_eq_u32_e32 vcc, 0, v9
	v_lshlrev_b64 v[16:17], 2, v[2:3]
	v_addc_co_u32_e64 v13, s[0:1], v8, v13, s[0:1]
	v_add_u32_e32 v4, 0x800, v4
	v_add_u32_e32 v5, 0x800, v5
	v_add_co_u32_e64 v10, s[0:1], s20, v10
	s_or_b64 s[18:19], vcc, s[18:19]
	v_add_co_u32_e32 v16, vcc, s20, v16
	v_addc_co_u32_e64 v11, s[0:1], v8, v11, s[0:1]
	v_addc_co_u32_e32 v17, vcc, v8, v17, vcc
	global_store_dword v[14:15], v3, off
	global_store_dword v[16:17], v3, off
	;; [unrolled: 1-line block ×4, first 2 shown]
	s_andn2_b64 exec, exec, s[18:19]
	s_cbranch_execnz .LBB49_3
; %bb.4:
	s_or_b64 exec, exec, s[18:19]
	v_cmp_ne_u32_e32 vcc, v6, v7
	v_lshl_or_b32 v2, v7, 9, v0
	s_orn2_b64 s[0:1], vcc, exec
.LBB49_5:
	s_or_b64 exec, exec, s[16:17]
	s_and_b64 exec, exec, s[0:1]
	s_cbranch_execz .LBB49_8
; %bb.6:
	v_mov_b32_e32 v3, 0
	s_add_u32 s0, s2, s12
	v_lshlrev_b64 v[4:5], 2, v[2:3]
	s_addc_u32 s1, s3, s13
	v_mov_b32_e32 v1, s1
	v_add_co_u32_e32 v4, vcc, s0, v4
	v_addc_co_u32_e32 v5, vcc, v1, v5, vcc
	s_mov_b64 s[16:17], 0
.LBB49_7:                               ; =>This Inner Loop Header: Depth=1
	v_add_u32_e32 v2, 0x200, v2
	global_store_dword v[4:5], v3, off
	v_add_co_u32_e32 v4, vcc, 0x800, v4
	v_cmp_le_i32_e64 s[0:1], s9, v2
	s_or_b64 s[16:17], s[0:1], s[16:17]
	v_addc_co_u32_e32 v5, vcc, 0, v5, vcc
	s_andn2_b64 exec, exec, s[16:17]
	s_cbranch_execnz .LBB49_7
.LBB49_8:
	s_or_b64 exec, exec, s[14:15]
	s_load_dwordx2 s[14:15], s[4:5], 0x38
	s_mul_i32 s8, s10, s8
	v_cmp_gt_i32_e32 vcc, s8, v0
	v_lshlrev_b32_e32 v1, 2, v0
	s_waitcnt lgkmcnt(0)
	s_barrier
	s_and_saveexec_b64 s[16:17], vcc
	s_cbranch_execz .LBB49_13
; %bb.9:
	s_load_dwordx2 s[0:1], s[4:5], 0x0
	s_mov_b32 s5, 0
	s_mov_b32 s4, s11
	s_sub_i32 s18, 0, s10
	v_mad_u64_u32 v[2:3], s[10:11], v0, s11, 0
	s_lshl_b64 s[4:5], s[4:5], 9
	s_waitcnt lgkmcnt(0)
	v_mov_b32_e32 v5, s1
	v_add_co_u32_e32 v4, vcc, s0, v1
	v_addc_co_u32_e32 v5, vcc, 0, v5, vcc
	s_mov_b64 s[10:11], 0
	v_mov_b32_e32 v7, 0
	v_mov_b32_e32 v8, s5
	;; [unrolled: 1-line block ×3, first 2 shown]
	s_branch .LBB49_11
.LBB49_10:                              ;   in Loop: Header=BB49_11 Depth=1
	s_or_b64 exec, exec, s[0:1]
	v_add_co_u32_e32 v2, vcc, s4, v2
	v_add_u32_e32 v9, 0x200, v9
	v_addc_co_u32_e32 v3, vcc, v3, v8, vcc
	v_add_co_u32_e32 v4, vcc, 0x800, v4
	v_cmp_le_i32_e64 s[0:1], s8, v9
	s_or_b64 s[10:11], s[0:1], s[10:11]
	v_addc_co_u32_e32 v5, vcc, 0, v5, vcc
	s_andn2_b64 exec, exec, s[10:11]
	s_cbranch_execz .LBB49_13
.LBB49_11:                              ; =>This Inner Loop Header: Depth=1
	global_load_dword v6, v[4:5], off
	s_waitcnt vmcnt(0)
	v_cmp_eq_u32_e32 vcc, s6, v6
	s_and_saveexec_b64 s[0:1], vcc
	s_cbranch_execz .LBB49_10
; %bb.12:                               ;   in Loop: Header=BB49_11 Depth=1
	v_add_u32_e32 v6, v9, v3
	v_lshrrev_b32_e32 v6, s7, v6
	v_mul_lo_u32 v10, s18, v6
	v_add3_u32 v10, v9, v10, 1
	v_and_b32_e32 v12, 0xffff, v10
	v_lshlrev_b64 v[10:11], 2, v[6:7]
	v_mov_b32_e32 v6, s21
	v_add_co_u32_e32 v10, vcc, s20, v10
	v_addc_co_u32_e32 v11, vcc, v6, v11, vcc
	global_store_dword v[10:11], v12, off
	s_branch .LBB49_10
.LBB49_13:
	s_or_b64 exec, exec, s[16:17]
	s_cmp_lt_i32 s9, 1
	s_barrier
	s_cbranch_scc1 .LBB49_18
; %bb.14:
	s_add_i32 s0, s9, 0x1ff
	s_lshr_b32 s4, s0, 9
	v_mbcnt_lo_u32_b32 v2, -1, 0
	v_mbcnt_hi_u32_b32 v2, -1, v2
	s_add_u32 s0, s2, s12
	v_lshlrev_b32_e32 v2, 2, v2
	s_addc_u32 s1, s3, s13
	v_xor_b32_e32 v5, 4, v2
	v_xor_b32_e32 v6, 8, v2
	;; [unrolled: 1-line block ×6, first 2 shown]
	v_mov_b32_e32 v3, s1
	v_add_co_u32_e32 v2, vcc, s0, v1
	v_mov_b32_e32 v4, 0
	v_addc_co_u32_e32 v3, vcc, 0, v3, vcc
	v_mov_b32_e32 v1, v0
	s_branch .LBB49_16
.LBB49_15:                              ;   in Loop: Header=BB49_16 Depth=1
	s_or_b64 exec, exec, s[0:1]
	s_waitcnt vmcnt(0)
	v_cmp_ne_u32_e32 vcc, 0, v11
	v_cndmask_b32_e64 v11, 0, 1, vcc
	ds_bpermute_b32 v11, v5, v11
	s_add_i32 s4, s4, -1
	s_cmp_eq_u32 s4, 0
	v_add_u32_e32 v1, 0x200, v1
	s_waitcnt lgkmcnt(0)
	v_addc_co_u32_e64 v12, s[0:1], 0, v11, vcc
	ds_bpermute_b32 v12, v6, v12
	s_waitcnt lgkmcnt(0)
	v_addc_co_u32_e32 v11, vcc, v12, v11, vcc
	ds_bpermute_b32 v12, v7, v11
	v_add_co_u32_e32 v2, vcc, 0x800, v2
	v_addc_co_u32_e32 v3, vcc, 0, v3, vcc
	s_waitcnt lgkmcnt(0)
	v_add_u32_e32 v11, v11, v12
	ds_bpermute_b32 v12, v8, v11
	s_waitcnt lgkmcnt(0)
	v_add_u32_e32 v11, v11, v12
	ds_bpermute_b32 v12, v9, v11
	;; [unrolled: 3-line block ×3, first 2 shown]
	s_waitcnt lgkmcnt(0)
	v_add3_u32 v4, v12, v4, v11
	s_cbranch_scc1 .LBB49_19
.LBB49_16:                              ; =>This Inner Loop Header: Depth=1
	v_cmp_gt_i32_e32 vcc, s9, v1
	v_mov_b32_e32 v11, 0
	s_and_saveexec_b64 s[0:1], vcc
	s_cbranch_execz .LBB49_15
; %bb.17:                               ;   in Loop: Header=BB49_16 Depth=1
	global_load_dword v11, v[2:3], off
	s_branch .LBB49_15
.LBB49_18:
	v_mov_b32_e32 v4, 0
.LBB49_19:
	v_and_b32_e32 v1, 63, v0
	v_cmp_eq_u32_e32 vcc, 0, v1
	s_and_saveexec_b64 s[0:1], vcc
	s_cbranch_execz .LBB49_21
; %bb.20:
	v_lshrrev_b32_e32 v1, 4, v0
	v_and_b32_e32 v1, 60, v1
	ds_write_b32 v1, v4
.LBB49_21:
	s_or_b64 exec, exec, s[0:1]
	v_cmp_eq_u32_e32 vcc, 0, v0
	s_waitcnt lgkmcnt(0)
	s_barrier
	s_and_saveexec_b64 s[0:1], vcc
	s_cbranch_execz .LBB49_23
; %bb.22:
	v_mov_b32_e32 v8, 0
	ds_read_b128 v[0:3], v8
	ds_read_b128 v[4:7], v8 offset:16
	s_ashr_i32 s7, s6, 31
	s_lshl_b64 s[0:1], s[6:7], 2
	s_add_u32 s0, s14, s0
	s_waitcnt lgkmcnt(1)
	v_add_u32_e32 v0, v1, v0
	v_add_u32_e32 v0, v0, v2
	;; [unrolled: 1-line block ×3, first 2 shown]
	s_waitcnt lgkmcnt(0)
	v_add_u32_e32 v0, v0, v4
	v_add_u32_e32 v0, v0, v5
	;; [unrolled: 1-line block ×4, first 2 shown]
	s_addc_u32 s1, s15, s1
	global_store_dword v8, v0, s[0:1]
.LBB49_23:
	s_endpgm
	.section	.rodata,"a",@progbits
	.p2align	6, 0x0
	.amdhsa_kernel _ZN5aiter22opus_moe_sorting_entryINS_32MoeSortingMultiPhaseKernel_P0_v2INS_19MoeSortingProblemMpIifiLi1ELb1ELb0ELb1EEEEENS4_5KargsEEEvT0_
		.amdhsa_group_segment_fixed_size 32
		.amdhsa_private_segment_fixed_size 0
		.amdhsa_kernarg_size 72
		.amdhsa_user_sgpr_count 6
		.amdhsa_user_sgpr_private_segment_buffer 1
		.amdhsa_user_sgpr_dispatch_ptr 0
		.amdhsa_user_sgpr_queue_ptr 0
		.amdhsa_user_sgpr_kernarg_segment_ptr 1
		.amdhsa_user_sgpr_dispatch_id 0
		.amdhsa_user_sgpr_flat_scratch_init 0
		.amdhsa_user_sgpr_kernarg_preload_length 0
		.amdhsa_user_sgpr_kernarg_preload_offset 0
		.amdhsa_user_sgpr_private_segment_size 0
		.amdhsa_uses_dynamic_stack 0
		.amdhsa_system_sgpr_private_segment_wavefront_offset 0
		.amdhsa_system_sgpr_workgroup_id_x 1
		.amdhsa_system_sgpr_workgroup_id_y 0
		.amdhsa_system_sgpr_workgroup_id_z 0
		.amdhsa_system_sgpr_workgroup_info 0
		.amdhsa_system_vgpr_workitem_id 0
		.amdhsa_next_free_vgpr 18
		.amdhsa_next_free_sgpr 22
		.amdhsa_accum_offset 20
		.amdhsa_reserve_vcc 1
		.amdhsa_reserve_flat_scratch 0
		.amdhsa_float_round_mode_32 0
		.amdhsa_float_round_mode_16_64 0
		.amdhsa_float_denorm_mode_32 3
		.amdhsa_float_denorm_mode_16_64 3
		.amdhsa_dx10_clamp 1
		.amdhsa_ieee_mode 1
		.amdhsa_fp16_overflow 0
		.amdhsa_tg_split 0
		.amdhsa_exception_fp_ieee_invalid_op 0
		.amdhsa_exception_fp_denorm_src 0
		.amdhsa_exception_fp_ieee_div_zero 0
		.amdhsa_exception_fp_ieee_overflow 0
		.amdhsa_exception_fp_ieee_underflow 0
		.amdhsa_exception_fp_ieee_inexact 0
		.amdhsa_exception_int_div_zero 0
	.end_amdhsa_kernel
	.section	.text._ZN5aiter22opus_moe_sorting_entryINS_32MoeSortingMultiPhaseKernel_P0_v2INS_19MoeSortingProblemMpIifiLi1ELb1ELb0ELb1EEEEENS4_5KargsEEEvT0_,"axG",@progbits,_ZN5aiter22opus_moe_sorting_entryINS_32MoeSortingMultiPhaseKernel_P0_v2INS_19MoeSortingProblemMpIifiLi1ELb1ELb0ELb1EEEEENS4_5KargsEEEvT0_,comdat
.Lfunc_end49:
	.size	_ZN5aiter22opus_moe_sorting_entryINS_32MoeSortingMultiPhaseKernel_P0_v2INS_19MoeSortingProblemMpIifiLi1ELb1ELb0ELb1EEEEENS4_5KargsEEEvT0_, .Lfunc_end49-_ZN5aiter22opus_moe_sorting_entryINS_32MoeSortingMultiPhaseKernel_P0_v2INS_19MoeSortingProblemMpIifiLi1ELb1ELb0ELb1EEEEENS4_5KargsEEEvT0_
                                        ; -- End function
	.section	.AMDGPU.csdata,"",@progbits
; Kernel info:
; codeLenInByte = 1128
; NumSgprs: 26
; NumVgprs: 18
; NumAgprs: 0
; TotalNumVgprs: 18
; ScratchSize: 0
; MemoryBound: 0
; FloatMode: 240
; IeeeMode: 1
; LDSByteSize: 32 bytes/workgroup (compile time only)
; SGPRBlocks: 3
; VGPRBlocks: 2
; NumSGPRsForWavesPerEU: 26
; NumVGPRsForWavesPerEU: 18
; AccumOffset: 20
; Occupancy: 8
; WaveLimiterHint : 0
; COMPUTE_PGM_RSRC2:SCRATCH_EN: 0
; COMPUTE_PGM_RSRC2:USER_SGPR: 6
; COMPUTE_PGM_RSRC2:TRAP_HANDLER: 0
; COMPUTE_PGM_RSRC2:TGID_X_EN: 1
; COMPUTE_PGM_RSRC2:TGID_Y_EN: 0
; COMPUTE_PGM_RSRC2:TGID_Z_EN: 0
; COMPUTE_PGM_RSRC2:TIDIG_COMP_CNT: 0
; COMPUTE_PGM_RSRC3_GFX90A:ACCUM_OFFSET: 4
; COMPUTE_PGM_RSRC3_GFX90A:TG_SPLIT: 0
	.section	.text._ZN5aiter22opus_moe_sorting_entryINS_30MoeSortingMultiPhaseKernel_P23INS_19MoeSortingProblemMpIifiLi1ELb1ELb0ELb1EEEEENS4_5KargsEEEvT0_,"axG",@progbits,_ZN5aiter22opus_moe_sorting_entryINS_30MoeSortingMultiPhaseKernel_P23INS_19MoeSortingProblemMpIifiLi1ELb1ELb0ELb1EEEEENS4_5KargsEEEvT0_,comdat
	.protected	_ZN5aiter22opus_moe_sorting_entryINS_30MoeSortingMultiPhaseKernel_P23INS_19MoeSortingProblemMpIifiLi1ELb1ELb0ELb1EEEEENS4_5KargsEEEvT0_ ; -- Begin function _ZN5aiter22opus_moe_sorting_entryINS_30MoeSortingMultiPhaseKernel_P23INS_19MoeSortingProblemMpIifiLi1ELb1ELb0ELb1EEEEENS4_5KargsEEEvT0_
	.globl	_ZN5aiter22opus_moe_sorting_entryINS_30MoeSortingMultiPhaseKernel_P23INS_19MoeSortingProblemMpIifiLi1ELb1ELb0ELb1EEEEENS4_5KargsEEEvT0_
	.p2align	8
	.type	_ZN5aiter22opus_moe_sorting_entryINS_30MoeSortingMultiPhaseKernel_P23INS_19MoeSortingProblemMpIifiLi1ELb1ELb0ELb1EEEEENS4_5KargsEEEvT0_,@function
_ZN5aiter22opus_moe_sorting_entryINS_30MoeSortingMultiPhaseKernel_P23INS_19MoeSortingProblemMpIifiLi1ELb1ELb0ELb1EEEEENS4_5KargsEEEvT0_: ; @_ZN5aiter22opus_moe_sorting_entryINS_30MoeSortingMultiPhaseKernel_P23INS_19MoeSortingProblemMpIifiLi1ELb1ELb0ELb1EEEEENS4_5KargsEEEvT0_
; %bb.0:
	s_load_dwordx4 s[20:23], s[4:5], 0x60
	s_load_dwordx16 s[36:51], s[4:5], 0x20
	s_mov_b64 s[0:1], -1
	s_waitcnt lgkmcnt(0)
	s_cmp_lt_i32 s6, s21
	s_cbranch_scc1 .LBB50_5
; %bb.1:
	s_load_dwordx2 s[0:1], s[4:5], 0x84
	s_sub_i32 s7, s6, s21
	v_lshl_add_u32 v2, s7, 8, v0
	v_mov_b32_e32 v3, 0
	s_waitcnt lgkmcnt(0)
	s_ashr_i32 s2, s0, 31
	s_mul_hi_i32 s3, s1, s20
	s_mul_i32 s1, s1, s20
	s_mul_i32 s2, s1, s2
	s_mul_hi_u32 s8, s1, s0
	s_add_i32 s2, s8, s2
	s_mul_i32 s3, s3, s0
	s_add_i32 s2, s2, s3
	s_mul_i32 s1, s1, s0
	s_ashr_i32 s0, s2, 31
	s_lshr_b32 s0, s0, 28
	s_add_u32 s0, s1, s0
	s_addc_u32 s1, s2, 0
	s_ashr_i64 s[2:3], s[0:1], 4
	v_cmp_gt_i64_e32 vcc, s[2:3], v[2:3]
	s_and_saveexec_b64 s[8:9], vcc
	s_cbranch_execz .LBB50_4
; %bb.2:
	s_load_dword s0, s[4:5], 0x90
	v_lshlrev_b64 v[4:5], 4, v[2:3]
	v_mov_b32_e32 v1, s49
	v_add_co_u32_e32 v8, vcc, s48, v4
	s_waitcnt lgkmcnt(0)
	s_sub_i32 s0, s0, s21
	s_lshl_b32 s10, s0, 8
	s_ashr_i32 s11, s10, 31
	s_lshl_b64 s[12:13], s[10:11], 4
	v_pk_mov_b32 v[6:7], v[2:3], v[2:3] op_sel:[0,1]
	v_addc_co_u32_e32 v9, vcc, v1, v5, vcc
	s_mov_b64 s[14:15], 0
	v_mov_b32_e32 v2, v3
	v_mov_b32_e32 v4, v3
	;; [unrolled: 1-line block ×5, first 2 shown]
.LBB50_3:                               ; =>This Inner Loop Header: Depth=1
	v_add_co_u32_e32 v6, vcc, s10, v6
	v_addc_co_u32_e32 v7, vcc, v7, v1, vcc
	global_store_dwordx4 v[8:9], v[2:5], off
	v_add_co_u32_e32 v8, vcc, s12, v8
	v_cmp_le_i64_e64 s[0:1], s[2:3], v[6:7]
	s_or_b64 s[14:15], s[0:1], s[14:15]
	v_addc_co_u32_e32 v9, vcc, v9, v10, vcc
	s_andn2_b64 exec, exec, s[14:15]
	s_cbranch_execnz .LBB50_3
.LBB50_4:
	s_or_b64 exec, exec, s[8:9]
	s_mov_b64 s[0:1], 0
.LBB50_5:
	s_andn2_b64 vcc, exec, s[0:1]
	s_cbranch_vccnz .LBB50_62
; %bb.6:
	s_load_dwordx4 s[24:27], s[4:5], 0x70
	s_load_dwordx4 s[28:31], s[4:5], 0x0
	s_load_dwordx2 s[34:35], s[4:5], 0x10
	s_lshl_b32 s0, s21, 2
	s_add_i32 s7, s0, 0
	s_add_i32 s7, s7, 48
	s_waitcnt lgkmcnt(0)
	s_mov_b32 s27, 0
	v_lshrrev_b32_e32 v1, 6, v0
	s_cmp_lt_i32 s21, 1
	v_and_b32_e32 v8, 63, v0
	s_cbranch_scc1 .LBB50_29
; %bb.7:
	s_add_i32 s0, s21, 0xff
	s_lshr_b32 s33, s0, 8
	s_add_i32 s60, s23, -1
	v_mbcnt_lo_u32_b32 v2, -1, 0
	v_mbcnt_hi_u32_b32 v2, -1, v2
	s_cmp_lg_u64 s[50:51], 0
	v_lshlrev_b32_e32 v3, 2, v2
	s_cselect_b64 s[16:17], -1, 0
	s_movk_i32 s14, 0xff
	v_and_b32_e32 v3, 0xc0, v3
	v_cmp_lt_u32_e64 s[0:1], 15, v2
	v_cmp_lt_u32_e64 s[2:3], 31, v2
	s_movk_i32 s10, 0x7f
	s_movk_i32 s12, 0xbf
	s_cmp_eq_u32 s6, 0
	v_cndmask_b32_e64 v2, 0, 1, s[16:17]
	v_mov_b32_e32 v9, 0
	v_add_u32_e32 v10, -4, v3
	v_add_u32_e32 v11, 0xffffffbc, v3
	v_cmp_eq_u32_e64 s[4:5], 63, v8
	v_lshl_add_u32 v12, v1, 2, 0
	v_cmp_gt_u32_e64 s[8:9], 64, v0
	v_cmp_lt_u32_e64 s[10:11], s10, v0
	v_cmp_lt_u32_e64 s[12:13], s12, v0
	v_cmp_eq_u32_e64 s[14:15], s14, v0
	s_cselect_b64 s[48:49], -1, 0
	s_add_i32 s61, s7, 4
	v_cmp_ne_u32_e64 s[16:17], 1, v2
	v_mov_b32_e32 v13, 0
	v_mov_b32_e32 v3, 0
.LBB50_8:                               ; =>This Loop Header: Depth=1
                                        ;     Child Loop BB50_21 Depth 2
                                        ;     Child Loop BB50_26 Depth 2
	v_lshl_add_u32 v6, s27, 8, v0
	v_cmp_gt_i32_e32 vcc, s21, v6
	v_mov_b32_e32 v5, 0
	v_mov_b32_e32 v2, 0
	s_and_saveexec_b64 s[52:53], vcc
	s_cbranch_execz .LBB50_10
; %bb.9:                                ;   in Loop: Header=BB50_8 Depth=1
	v_ashrrev_i32_e32 v7, 31, v6
	v_lshlrev_b64 v[4:5], 2, v[6:7]
	v_mov_b32_e32 v2, s39
	v_add_co_u32_e64 v14, s[18:19], s38, v4
	v_addc_co_u32_e64 v15, s[18:19], v2, v5, s[18:19]
	v_mov_b32_e32 v2, s35
	v_add_co_u32_e64 v4, s[18:19], s34, v4
	v_addc_co_u32_e64 v5, s[18:19], v2, v5, s[18:19]
	global_load_dword v2, v[14:15], off
	s_nop 0
	global_load_dword v5, v[4:5], off
.LBB50_10:                              ;   in Loop: Header=BB50_8 Depth=1
	s_or_b64 exec, exec, s[52:53]
	s_waitcnt vmcnt(1)
	v_add_u32_e32 v2, s60, v2
	v_mul_hi_u32 v4, v2, s24
	v_add_u32_e32 v2, v2, v4
	v_lshrrev_b32_e32 v14, s25, v2
	s_waitcnt vmcnt(0)
	v_cmp_eq_u32_e64 s[18:19], 0, v5
	v_cndmask_b32_e64 v7, v14, 0, s[18:19]
	v_add_u32_dpp v19, v5, v5 row_shr:1 row_mask:0xf bank_mask:0xf bound_ctrl:1
	s_nop 0
	v_mov_b32_dpp v15, v7 row_shr:1 row_mask:0xf bank_mask:0xf bound_ctrl:1
	v_add_u32_e32 v2, v7, v15
	v_add_u32_dpp v19, v19, v19 row_shr:2 row_mask:0xf bank_mask:0xf bound_ctrl:1
	s_barrier
	v_mov_b32_dpp v16, v2 row_shr:2 row_mask:0xf bank_mask:0xf bound_ctrl:1
	v_add_u32_e32 v2, v2, v16
	v_add_u32_dpp v19, v19, v19 row_shr:4 row_mask:0xf bank_mask:0xf bound_ctrl:1
	s_nop 0
	v_mov_b32_dpp v17, v2 row_shr:4 row_mask:0xf bank_mask:0xf bound_ctrl:1
	v_add_u32_e32 v2, v2, v17
	v_add_u32_dpp v20, v19, v19 row_shr:8 row_mask:0xf bank_mask:0xf bound_ctrl:1
	ds_bpermute_b32 v21, v10, v20
	v_mov_b32_dpp v18, v2 row_shr:8 row_mask:0xf bank_mask:0xf bound_ctrl:1
	v_add_u32_e32 v2, v2, v18
	ds_bpermute_b32 v4, v10, v2
	s_waitcnt lgkmcnt(1)
	v_cndmask_b32_e64 v21, 0, v21, s[0:1]
	v_add_u32_e32 v21, v21, v20
	ds_bpermute_b32 v22, v11, v21
	s_waitcnt lgkmcnt(1)
	v_cndmask_b32_e64 v19, 0, v4, s[0:1]
	;; [unrolled: 4-line block ×3, first 2 shown]
	v_cndmask_b32_e64 v4, 0, v22, s[2:3]
	v_add_u32_e32 v2, v2, v20
	v_add_u32_e32 v4, v4, v21
	s_and_saveexec_b64 s[52:53], s[4:5]
	s_cbranch_execz .LBB50_12
; %bb.11:                               ;   in Loop: Header=BB50_8 Depth=1
	ds_write2_b32 v12, v2, v4 offset0:4 offset1:8
.LBB50_12:                              ;   in Loop: Header=BB50_8 Depth=1
	s_or_b64 exec, exec, s[52:53]
	s_waitcnt lgkmcnt(0)
	s_barrier
	ds_read2_b32 v[22:23], v9 offset0:4 offset1:5
	ds_read2_b32 v[24:25], v9 offset0:8 offset1:9
	;; [unrolled: 1-line block ×3, first 2 shown]
	s_waitcnt lgkmcnt(2)
	v_cndmask_b32_e64 v21, v22, 0, s[8:9]
	s_waitcnt lgkmcnt(1)
	v_cndmask_b32_e64 v28, v24, 0, s[8:9]
	v_cndmask_b32_e64 v22, 0, v23, s[10:11]
	s_waitcnt lgkmcnt(0)
	v_cndmask_b32_e64 v23, 0, v26, s[12:13]
	v_add3_u32 v2, v2, v13, v21
	v_cndmask_b32_e64 v25, 0, v25, s[10:11]
	v_cndmask_b32_e64 v26, 0, v27, s[12:13]
	v_add3_u32 v24, v2, v22, v23
	v_add3_u32 v2, v4, v3, v28
	;; [unrolled: 1-line block ×3, first 2 shown]
	s_and_saveexec_b64 s[52:53], s[14:15]
	s_cbranch_execz .LBB50_14
; %bb.13:                               ;   in Loop: Header=BB50_8 Depth=1
	ds_write2_b32 v9, v24, v4 offset0:2 offset1:3
.LBB50_14:                              ;   in Loop: Header=BB50_8 Depth=1
	s_or_b64 exec, exec, s[52:53]
	s_waitcnt lgkmcnt(0)
	s_barrier
	ds_read2_b32 v[2:3], v9 offset0:2 offset1:3
	v_sub_u32_e32 v4, v4, v5
	s_and_saveexec_b64 s[52:53], vcc
	s_cbranch_execz .LBB50_17
; %bb.15:                               ;   in Loop: Header=BB50_8 Depth=1
	v_sub_u32_e32 v7, v24, v7
	v_mul_lo_u32 v7, v7, s23
	v_lshl_add_u32 v24, v6, 2, 0
	s_and_b64 vcc, exec, s[16:17]
	ds_write_b32 v24, v7 offset:48
	s_cbranch_vccnz .LBB50_17
; %bb.16:                               ;   in Loop: Header=BB50_8 Depth=1
	v_cndmask_b32_e64 v7, v4, -1, s[18:19]
	v_lshl_add_u32 v6, v6, 2, s61
	ds_write_b32 v6, v7
.LBB50_17:                              ;   in Loop: Header=BB50_8 Depth=1
	s_or_b64 exec, exec, s[52:53]
	v_cmp_ne_u32_e32 vcc, 0, v5
	s_and_b64 s[18:19], s[48:49], vcc
	v_cmp_lt_i32_e32 vcc, 0, v14
	s_and_b64 s[52:53], s[18:19], vcc
	s_and_saveexec_b64 s[18:19], s[52:53]
	s_cbranch_execz .LBB50_27
; %bb.18:                               ;   in Loop: Header=BB50_8 Depth=1
	v_cmp_gt_u32_e64 s[52:53], 10, v14
	v_cmp_lt_u32_e32 vcc, 9, v14
	v_mov_b32_e32 v24, 0
	s_and_saveexec_b64 s[54:55], vcc
	s_cbranch_execz .LBB50_24
; %bb.19:                               ;   in Loop: Header=BB50_8 Depth=1
	v_add_u32_e32 v5, v19, v20
	v_add3_u32 v5, v5, v22, v23
	v_add3_u32 v5, v5, v21, v15
	;; [unrolled: 1-line block ×4, first 2 shown]
	v_add3_u32 v5, v14, v6, -1
	v_cmp_ge_i32_e32 vcc, v5, v6
	s_mov_b64 s[58:59], -1
	v_mov_b32_e32 v24, 0
	s_and_saveexec_b64 s[56:57], vcc
	s_cbranch_execz .LBB50_23
; %bb.20:                               ;   in Loop: Header=BB50_8 Depth=1
	v_and_b32_e32 v24, 0x7ffffffe, v14
	v_mov_b32_e32 v5, v4
	s_mov_b64 s[58:59], 0
	v_mov_b32_e32 v25, v24
.LBB50_21:                              ;   Parent Loop BB50_8 Depth=1
                                        ; =>  This Inner Loop Header: Depth=2
	v_ashrrev_i32_e32 v7, 31, v6
	v_lshlrev_b64 v[26:27], 2, v[6:7]
	v_mov_b32_e32 v7, s43
	v_add_co_u32_e32 v26, vcc, s42, v26
	v_addc_co_u32_e32 v27, vcc, v7, v27, vcc
	v_add_u32_e32 v25, -2, v25
	v_cmp_eq_u32_e32 vcc, 0, v25
	s_or_b64 s[58:59], vcc, s[58:59]
	v_add_u32_e32 v6, 2, v6
	global_store_dwordx2 v[26:27], v[4:5], off
	s_andn2_b64 exec, exec, s[58:59]
	s_cbranch_execnz .LBB50_21
; %bb.22:                               ;   in Loop: Header=BB50_8 Depth=1
	s_or_b64 exec, exec, s[58:59]
	v_cmp_ne_u32_e32 vcc, v14, v24
	s_orn2_b64 s[58:59], vcc, exec
.LBB50_23:                              ;   in Loop: Header=BB50_8 Depth=1
	s_or_b64 exec, exec, s[56:57]
	s_andn2_b64 s[52:53], s[52:53], exec
	s_and_b64 s[56:57], s[58:59], exec
	s_or_b64 s[52:53], s[52:53], s[56:57]
.LBB50_24:                              ;   in Loop: Header=BB50_8 Depth=1
	s_or_b64 exec, exec, s[54:55]
	s_and_b64 exec, exec, s[52:53]
	s_cbranch_execz .LBB50_27
; %bb.25:                               ;   in Loop: Header=BB50_8 Depth=1
	v_add3_u32 v6, v13, v19, v20
	v_add3_u32 v6, v6, v22, v23
	;; [unrolled: 1-line block ×4, first 2 shown]
	v_sub_u32_e32 v5, v14, v24
	v_add3_u32 v6, v6, v18, v24
	s_mov_b64 s[52:53], 0
.LBB50_26:                              ;   Parent Loop BB50_8 Depth=1
                                        ; =>  This Inner Loop Header: Depth=2
	v_ashrrev_i32_e32 v7, 31, v6
	v_lshlrev_b64 v[14:15], 2, v[6:7]
	v_mov_b32_e32 v7, s43
	v_add_co_u32_e32 v14, vcc, s42, v14
	v_addc_co_u32_e32 v15, vcc, v7, v15, vcc
	v_add_u32_e32 v5, -1, v5
	v_cmp_eq_u32_e32 vcc, 0, v5
	s_or_b64 s[52:53], vcc, s[52:53]
	v_add_u32_e32 v6, 1, v6
	global_store_dword v[14:15], v4, off
	s_andn2_b64 exec, exec, s[52:53]
	s_cbranch_execnz .LBB50_26
.LBB50_27:                              ;   in Loop: Header=BB50_8 Depth=1
	s_or_b64 exec, exec, s[18:19]
	s_add_i32 s27, s27, 1
	s_cmp_eq_u32 s27, s33
	s_cbranch_scc1 .LBB50_30
; %bb.28:                               ;   in Loop: Header=BB50_8 Depth=1
	s_waitcnt lgkmcnt(0)
	v_mov_b32_e32 v13, v2
	s_branch .LBB50_8
.LBB50_29:
	v_mov_b32_e32 v2, 0
.LBB50_30:
	v_cmp_eq_u32_e32 vcc, 0, v0
	s_and_saveexec_b64 s[0:1], vcc
	s_cbranch_execz .LBB50_34
; %bb.31:
	s_cmp_lg_u32 s6, 0
	s_waitcnt lgkmcnt(0)
	v_mul_lo_u32 v2, v2, s23
	s_cbranch_scc1 .LBB50_33
; %bb.32:
	v_mov_b32_e32 v4, 0
	v_mov_b32_e32 v3, s20
	global_store_dwordx2 v4, v[2:3], s[40:41]
.LBB50_33:
	v_mov_b32_e32 v3, s7
	ds_write_b32 v3, v2
.LBB50_34:
	s_or_b64 exec, exec, s[0:1]
	s_cmp_eq_u64 s[50:51], 0
	s_cselect_b64 s[0:1], -1, 0
	s_cmp_lg_u32 s6, 0
	s_cselect_b64 s[2:3], -1, 0
	s_or_b64 s[0:1], s[2:3], s[0:1]
	s_and_b64 vcc, exec, s[0:1]
	s_waitcnt lgkmcnt(0)
	s_barrier
	s_cbranch_vccnz .LBB50_41
; %bb.35:
	s_mul_i32 s8, s26, s20
	v_cmp_gt_i32_e32 vcc, s8, v0
	s_and_saveexec_b64 s[2:3], vcc
	s_cbranch_execz .LBB50_40
; %bb.36:
	v_lshlrev_b32_e32 v4, 2, v0
	v_mov_b32_e32 v3, s29
	v_add_co_u32_e32 v2, vcc, s28, v4
	v_addc_co_u32_e32 v3, vcc, 0, v3, vcc
	v_mov_b32_e32 v5, s51
	v_add_co_u32_e32 v4, vcc, s50, v4
	s_add_i32 s7, s7, 4
	v_addc_co_u32_e32 v5, vcc, 0, v5, vcc
	s_mov_b64 s[4:5], 0
	v_mov_b32_e32 v6, v0
	s_branch .LBB50_38
.LBB50_37:                              ;   in Loop: Header=BB50_38 Depth=1
	s_or_b64 exec, exec, s[0:1]
	v_add_co_u32_e32 v2, vcc, 0x400, v2
	v_add_u32_e32 v6, 0x100, v6
	v_addc_co_u32_e32 v3, vcc, 0, v3, vcc
	s_waitcnt lgkmcnt(0)
	global_store_dword v[4:5], v9, off
	v_add_co_u32_e32 v4, vcc, 0x400, v4
	v_cmp_le_i32_e64 s[0:1], s8, v6
	s_or_b64 s[4:5], s[0:1], s[4:5]
	v_addc_co_u32_e32 v5, vcc, 0, v5, vcc
	s_andn2_b64 exec, exec, s[4:5]
	s_cbranch_execz .LBB50_40
.LBB50_38:                              ; =>This Inner Loop Header: Depth=1
	global_load_dword v7, v[2:3], off
	v_mov_b32_e32 v9, -1
	s_waitcnt vmcnt(0)
	v_cmp_lt_i32_e32 vcc, -1, v7
	v_cmp_gt_i32_e64 s[0:1], s21, v7
	s_and_b64 s[10:11], vcc, s[0:1]
	s_and_saveexec_b64 s[0:1], s[10:11]
	s_cbranch_execz .LBB50_37
; %bb.39:                               ;   in Loop: Header=BB50_38 Depth=1
	v_lshl_add_u32 v7, v7, 2, s7
	ds_read_b32 v9, v7
	s_branch .LBB50_37
.LBB50_40:
	s_or_b64 exec, exec, s[2:3]
.LBB50_41:
	s_lshl_b32 s0, s6, 2
	s_add_i32 s0, s0, 0
	v_mov_b32_e32 v2, s0
	ds_read2_b32 v[2:3], v2 offset0:12 offset1:13
	s_waitcnt lgkmcnt(0)
	v_cmp_eq_u32_e32 vcc, v2, v3
	s_cbranch_vccnz .LBB50_62
; %bb.42:
	s_ashr_i32 s7, s6, 31
	s_lshl_b64 s[0:1], s[6:7], 2
	s_add_u32 s0, s34, s0
	s_addc_u32 s1, s35, s1
	v_mov_b32_e32 v5, 0
	global_load_dword v4, v5, s[0:1]
	s_waitcnt vmcnt(0)
	v_cmp_eq_u32_e32 vcc, 0, v4
	s_cbranch_vccnz .LBB50_62
; %bb.43:
	s_cmp_lt_i32 s22, 1
	s_cbranch_scc1 .LBB50_54
; %bb.44:
	s_add_i32 s0, s22, 0xff
	s_lshr_b32 s16, s0, 8
	s_mul_i32 s0, s22, s6
	v_mbcnt_lo_u32_b32 v4, -1, 0
	s_ashr_i32 s1, s0, 31
	v_mbcnt_hi_u32_b32 v4, -1, v4
	s_lshl_b64 s[0:1], s[0:1], 2
	v_lshlrev_b32_e32 v5, 2, v4
	s_add_u32 s17, s36, s0
	v_and_b32_e32 v5, 0xc0, v5
	s_movk_i32 s10, 0xff
	s_addc_u32 s18, s37, s1
	v_add_u32_e32 v11, -4, v5
	v_cmp_lt_u32_e32 vcc, 15, v4
	v_add_u32_e32 v12, 0xffffffbc, v5
	v_cmp_lt_u32_e64 s[0:1], 31, v4
	s_movk_i32 s6, 0x7f
	s_movk_i32 s8, 0xbf
	v_mad_u64_u32 v[4:5], s[12:13], v0, s26, -1
	v_mov_b32_e32 v10, 0
	v_cmp_eq_u32_e64 s[2:3], 63, v8
	v_lshl_add_u32 v1, v1, 2, 0
	v_cmp_gt_u32_e64 s[4:5], 64, v0
	v_cmp_lt_u32_e64 s[6:7], s6, v0
	v_cmp_lt_u32_e64 s[8:9], s8, v0
	v_cmp_eq_u32_e64 s[10:11], s10, v0
	s_lshl_b32 s19, s26, 8
	s_mov_b32 s21, 0x4020100
	v_mov_b32_e32 v7, 0
	v_mov_b32_e32 v8, v0
	;; [unrolled: 1-line block ×3, first 2 shown]
	s_branch .LBB50_46
.LBB50_45:                              ;   in Loop: Header=BB50_46 Depth=1
	s_or_b64 exec, exec, s[14:15]
	s_add_i32 s16, s16, -1
	v_add_u32_e32 v8, 0x100, v8
	s_cmp_eq_u32 s16, 0
	v_add_u32_e32 v4, s19, v4
	s_cbranch_scc1 .LBB50_54
.LBB50_46:                              ; =>This Inner Loop Header: Depth=1
	v_cmp_gt_i32_e64 s[12:13], s20, v8
	v_mov_b32_e32 v6, 0
	s_and_saveexec_b64 s[14:15], s[12:13]
	s_cbranch_execz .LBB50_48
; %bb.47:                               ;   in Loop: Header=BB50_46 Depth=1
	v_ashrrev_i32_e32 v9, 31, v8
	v_lshlrev_b64 v[14:15], 2, v[8:9]
	v_mov_b32_e32 v6, s18
	v_add_co_u32_e64 v14, s[12:13], s17, v14
	v_addc_co_u32_e64 v15, s[12:13], v6, v15, s[12:13]
	global_load_dword v6, v[14:15], off
.LBB50_48:                              ;   in Loop: Header=BB50_46 Depth=1
	s_or_b64 exec, exec, s[14:15]
	s_waitcnt vmcnt(0)
	v_add_co_u32_e64 v9, s[12:13], -1, v6
	v_cndmask_b32_e64 v13, 0, 1, s[12:13]
	s_barrier
	s_nop 0
	v_mov_b32_dpp v14, v13 row_shr:1 row_mask:0xf bank_mask:0xf bound_ctrl:1
	v_addc_co_u32_e64 v15, s[14:15], 0, v14, s[12:13]
	s_nop 1
	v_mov_b32_dpp v15, v15 row_shr:2 row_mask:0xf bank_mask:0xf bound_ctrl:1
	v_addc_co_u32_e64 v14, s[14:15], v15, v14, s[12:13]
	s_nop 1
	v_add_u32_dpp v14, v14, v14 row_shr:4 row_mask:0xf bank_mask:0xf bound_ctrl:1
	s_nop 1
	v_add_u32_dpp v14, v14, v14 row_shr:8 row_mask:0xf bank_mask:0xf bound_ctrl:1
	ds_bpermute_b32 v15, v11, v14
	s_waitcnt lgkmcnt(0)
	v_cndmask_b32_e32 v15, 0, v15, vcc
	v_add_u32_e32 v14, v14, v15
	ds_bpermute_b32 v15, v12, v14
	s_waitcnt lgkmcnt(0)
	v_cndmask_b32_e64 v15, 0, v15, s[0:1]
	v_add_u32_e32 v14, v14, v15
	s_and_saveexec_b64 s[14:15], s[2:3]
	s_cbranch_execz .LBB50_50
; %bb.49:                               ;   in Loop: Header=BB50_46 Depth=1
	ds_write_b32 v1, v14 offset:16
.LBB50_50:                              ;   in Loop: Header=BB50_46 Depth=1
	s_or_b64 exec, exec, s[14:15]
	s_waitcnt lgkmcnt(0)
	s_barrier
	ds_read2_b32 v[16:17], v10 offset0:4 offset1:5
	ds_read_b32 v15, v10 offset:24
	s_waitcnt lgkmcnt(1)
	v_cndmask_b32_e64 v16, v16, 0, s[4:5]
	v_cndmask_b32_e64 v17, 0, v17, s[6:7]
	s_waitcnt lgkmcnt(0)
	v_cndmask_b32_e64 v15, 0, v15, s[8:9]
	v_add3_u32 v5, v14, v5, v16
	v_add3_u32 v14, v5, v17, v15
	s_and_saveexec_b64 s[14:15], s[10:11]
	s_cbranch_execz .LBB50_52
; %bb.51:                               ;   in Loop: Header=BB50_46 Depth=1
	ds_write_b32 v10, v14
.LBB50_52:                              ;   in Loop: Header=BB50_46 Depth=1
	s_or_b64 exec, exec, s[14:15]
	s_waitcnt lgkmcnt(0)
	s_barrier
	ds_read_b32 v5, v10
	s_and_saveexec_b64 s[14:15], s[12:13]
	s_cbranch_execz .LBB50_45
; %bb.53:                               ;   in Loop: Header=BB50_46 Depth=1
	v_add_u32_e32 v6, v6, v4
	v_lshlrev_b64 v[16:17], 2, v[6:7]
	v_mov_b32_e32 v6, s31
	v_add_co_u32_e64 v16, s[12:13], s30, v16
	v_addc_co_u32_e64 v17, s[12:13], v6, v17, s[12:13]
	global_load_dword v6, v[16:17], off
	v_sub_u32_e32 v13, v2, v13
	v_add_u32_e32 v14, v13, v14
	v_ashrrev_i32_e32 v15, 31, v14
	v_lshlrev_b64 v[14:15], 2, v[14:15]
	v_mov_b32_e32 v13, s45
	v_add_co_u32_e64 v16, s[12:13], s44, v14
	v_perm_b32 v9, v9, v8, s21
	v_addc_co_u32_e64 v17, s[12:13], v13, v15, s[12:13]
	global_store_dword v[16:17], v9, off
	v_mov_b32_e32 v9, s47
	v_add_co_u32_e64 v14, s[12:13], s46, v14
	v_addc_co_u32_e64 v15, s[12:13], v9, v15, s[12:13]
	s_waitcnt vmcnt(1)
	global_store_dword v[14:15], v6, off
	s_branch .LBB50_45
.LBB50_54:
	s_waitcnt lgkmcnt(0)
	v_add_u32_e32 v1, v5, v2
	v_add_u32_e32 v4, v1, v0
	v_cmp_lt_i32_e32 vcc, v4, v3
	s_and_saveexec_b64 s[0:1], vcc
	s_cbranch_execz .LBB50_62
; %bb.55:
	v_add_u32_e32 v5, 0x100, v4
	v_max_i32_e32 v2, v3, v5
	s_and_b32 s0, s20, 0xffffff
	s_lshl_b32 s1, s26, 24
	v_xad_u32 v0, v0, -1, v2
	s_or_b32 s6, s1, s0
	v_sub_u32_e32 v0, v0, v1
	s_movk_i32 s0, 0xff
	v_cmp_lt_u32_e32 vcc, s0, v0
	s_mov_b64 s[0:1], -1
	s_and_saveexec_b64 s[2:3], vcc
	s_cbranch_execz .LBB50_59
; %bb.56:
	v_lshrrev_b32_e32 v0, 8, v0
	v_add_u32_e32 v2, 1, v0
	v_and_b32_e32 v6, 0x1fffffe, v2
	s_mov_b64 s[4:5], 0
	v_mov_b32_e32 v7, s45
	v_mov_b32_e32 v8, s6
	;; [unrolled: 1-line block ×5, first 2 shown]
	v_pk_mov_b32 v[0:1], v[4:5], v[4:5] op_sel:[0,1]
.LBB50_57:                              ; =>This Inner Loop Header: Depth=1
	v_ashrrev_i32_e32 v15, 31, v0
	v_mov_b32_e32 v14, v0
	v_lshlrev_b64 v[14:15], 2, v[14:15]
	v_ashrrev_i32_e32 v13, 31, v1
	v_mov_b32_e32 v12, v1
	v_add_co_u32_e64 v16, s[0:1], s44, v14
	v_lshlrev_b64 v[12:13], 2, v[12:13]
	v_addc_co_u32_e64 v17, s[0:1], v7, v15, s[0:1]
	v_add_co_u32_e64 v18, s[0:1], s44, v12
	v_addc_co_u32_e64 v19, s[0:1], v7, v13, s[0:1]
	v_add_u32_e32 v11, -2, v11
	v_add_co_u32_e64 v14, s[0:1], s46, v14
	v_cmp_eq_u32_e32 vcc, 0, v11
	v_addc_co_u32_e64 v15, s[0:1], v9, v15, s[0:1]
	v_add_u32_e32 v1, 0x200, v1
	v_add_u32_e32 v0, 0x200, v0
	v_add_co_u32_e64 v12, s[0:1], s46, v12
	s_or_b64 s[4:5], vcc, s[4:5]
	v_addc_co_u32_e64 v13, s[0:1], v9, v13, s[0:1]
	global_store_dword v[16:17], v8, off
	global_store_dword v[18:19], v8, off
	;; [unrolled: 1-line block ×4, first 2 shown]
	s_andn2_b64 exec, exec, s[4:5]
	s_cbranch_execnz .LBB50_57
; %bb.58:
	s_or_b64 exec, exec, s[4:5]
	v_cmp_ne_u32_e32 vcc, v2, v6
	v_lshl_add_u32 v4, v6, 8, v4
	s_orn2_b64 s[0:1], vcc, exec
.LBB50_59:
	s_or_b64 exec, exec, s[2:3]
	s_and_b64 exec, exec, s[0:1]
	s_cbranch_execz .LBB50_62
; %bb.60:
	v_ashrrev_i32_e32 v5, 31, v4
	v_lshlrev_b64 v[6:7], 2, v[4:5]
	v_mov_b32_e32 v1, s45
	v_add_co_u32_e32 v0, vcc, s44, v6
	v_addc_co_u32_e32 v1, vcc, v1, v7, vcc
	v_mov_b32_e32 v2, s47
	v_add_co_u32_e32 v6, vcc, s46, v6
	v_addc_co_u32_e32 v7, vcc, v2, v7, vcc
	s_mov_b64 s[2:3], 0
	v_mov_b32_e32 v2, s6
	v_mov_b32_e32 v5, 0
.LBB50_61:                              ; =>This Inner Loop Header: Depth=1
	global_store_dword v[0:1], v2, off
	global_store_dword v[6:7], v5, off
	v_add_co_u32_e32 v0, vcc, 0x400, v0
	v_add_u32_e32 v4, 0x100, v4
	v_addc_co_u32_e32 v1, vcc, 0, v1, vcc
	v_add_co_u32_e32 v6, vcc, 0x400, v6
	v_cmp_ge_i32_e64 s[0:1], v4, v3
	s_or_b64 s[2:3], s[0:1], s[2:3]
	v_addc_co_u32_e32 v7, vcc, 0, v7, vcc
	s_andn2_b64 exec, exec, s[2:3]
	s_cbranch_execnz .LBB50_61
.LBB50_62:
	s_endpgm
	.section	.rodata,"a",@progbits
	.p2align	6, 0x0
	.amdhsa_kernel _ZN5aiter22opus_moe_sorting_entryINS_30MoeSortingMultiPhaseKernel_P23INS_19MoeSortingProblemMpIifiLi1ELb1ELb0ELb1EEEEENS4_5KargsEEEvT0_
		.amdhsa_group_segment_fixed_size 0
		.amdhsa_private_segment_fixed_size 0
		.amdhsa_kernarg_size 400
		.amdhsa_user_sgpr_count 6
		.amdhsa_user_sgpr_private_segment_buffer 1
		.amdhsa_user_sgpr_dispatch_ptr 0
		.amdhsa_user_sgpr_queue_ptr 0
		.amdhsa_user_sgpr_kernarg_segment_ptr 1
		.amdhsa_user_sgpr_dispatch_id 0
		.amdhsa_user_sgpr_flat_scratch_init 0
		.amdhsa_user_sgpr_kernarg_preload_length 0
		.amdhsa_user_sgpr_kernarg_preload_offset 0
		.amdhsa_user_sgpr_private_segment_size 0
		.amdhsa_uses_dynamic_stack 0
		.amdhsa_system_sgpr_private_segment_wavefront_offset 0
		.amdhsa_system_sgpr_workgroup_id_x 1
		.amdhsa_system_sgpr_workgroup_id_y 0
		.amdhsa_system_sgpr_workgroup_id_z 0
		.amdhsa_system_sgpr_workgroup_info 0
		.amdhsa_system_vgpr_workitem_id 0
		.amdhsa_next_free_vgpr 29
		.amdhsa_next_free_sgpr 62
		.amdhsa_accum_offset 32
		.amdhsa_reserve_vcc 1
		.amdhsa_reserve_flat_scratch 0
		.amdhsa_float_round_mode_32 0
		.amdhsa_float_round_mode_16_64 0
		.amdhsa_float_denorm_mode_32 3
		.amdhsa_float_denorm_mode_16_64 3
		.amdhsa_dx10_clamp 1
		.amdhsa_ieee_mode 1
		.amdhsa_fp16_overflow 0
		.amdhsa_tg_split 0
		.amdhsa_exception_fp_ieee_invalid_op 0
		.amdhsa_exception_fp_denorm_src 0
		.amdhsa_exception_fp_ieee_div_zero 0
		.amdhsa_exception_fp_ieee_overflow 0
		.amdhsa_exception_fp_ieee_underflow 0
		.amdhsa_exception_fp_ieee_inexact 0
		.amdhsa_exception_int_div_zero 0
	.end_amdhsa_kernel
	.section	.text._ZN5aiter22opus_moe_sorting_entryINS_30MoeSortingMultiPhaseKernel_P23INS_19MoeSortingProblemMpIifiLi1ELb1ELb0ELb1EEEEENS4_5KargsEEEvT0_,"axG",@progbits,_ZN5aiter22opus_moe_sorting_entryINS_30MoeSortingMultiPhaseKernel_P23INS_19MoeSortingProblemMpIifiLi1ELb1ELb0ELb1EEEEENS4_5KargsEEEvT0_,comdat
.Lfunc_end50:
	.size	_ZN5aiter22opus_moe_sorting_entryINS_30MoeSortingMultiPhaseKernel_P23INS_19MoeSortingProblemMpIifiLi1ELb1ELb0ELb1EEEEENS4_5KargsEEEvT0_, .Lfunc_end50-_ZN5aiter22opus_moe_sorting_entryINS_30MoeSortingMultiPhaseKernel_P23INS_19MoeSortingProblemMpIifiLi1ELb1ELb0ELb1EEEEENS4_5KargsEEEvT0_
                                        ; -- End function
	.section	.AMDGPU.csdata,"",@progbits
; Kernel info:
; codeLenInByte = 2956
; NumSgprs: 66
; NumVgprs: 29
; NumAgprs: 0
; TotalNumVgprs: 29
; ScratchSize: 0
; MemoryBound: 0
; FloatMode: 240
; IeeeMode: 1
; LDSByteSize: 0 bytes/workgroup (compile time only)
; SGPRBlocks: 8
; VGPRBlocks: 3
; NumSGPRsForWavesPerEU: 66
; NumVGPRsForWavesPerEU: 29
; AccumOffset: 32
; Occupancy: 8
; WaveLimiterHint : 0
; COMPUTE_PGM_RSRC2:SCRATCH_EN: 0
; COMPUTE_PGM_RSRC2:USER_SGPR: 6
; COMPUTE_PGM_RSRC2:TRAP_HANDLER: 0
; COMPUTE_PGM_RSRC2:TGID_X_EN: 1
; COMPUTE_PGM_RSRC2:TGID_Y_EN: 0
; COMPUTE_PGM_RSRC2:TGID_Z_EN: 0
; COMPUTE_PGM_RSRC2:TIDIG_COMP_CNT: 0
; COMPUTE_PGM_RSRC3_GFX90A:ACCUM_OFFSET: 7
; COMPUTE_PGM_RSRC3_GFX90A:TG_SPLIT: 0
	.section	.text._ZN5aiter22opus_moe_sorting_entryINS_32MoeSortingMultiPhaseKernel_P0_v2INS_19MoeSortingProblemMpIifiLi1ELb0ELb1ELb1EEEEENS4_5KargsEEEvT0_,"axG",@progbits,_ZN5aiter22opus_moe_sorting_entryINS_32MoeSortingMultiPhaseKernel_P0_v2INS_19MoeSortingProblemMpIifiLi1ELb0ELb1ELb1EEEEENS4_5KargsEEEvT0_,comdat
	.protected	_ZN5aiter22opus_moe_sorting_entryINS_32MoeSortingMultiPhaseKernel_P0_v2INS_19MoeSortingProblemMpIifiLi1ELb0ELb1ELb1EEEEENS4_5KargsEEEvT0_ ; -- Begin function _ZN5aiter22opus_moe_sorting_entryINS_32MoeSortingMultiPhaseKernel_P0_v2INS_19MoeSortingProblemMpIifiLi1ELb0ELb1ELb1EEEEENS4_5KargsEEEvT0_
	.globl	_ZN5aiter22opus_moe_sorting_entryINS_32MoeSortingMultiPhaseKernel_P0_v2INS_19MoeSortingProblemMpIifiLi1ELb0ELb1ELb1EEEEENS4_5KargsEEEvT0_
	.p2align	8
	.type	_ZN5aiter22opus_moe_sorting_entryINS_32MoeSortingMultiPhaseKernel_P0_v2INS_19MoeSortingProblemMpIifiLi1ELb0ELb1ELb1EEEEENS4_5KargsEEEvT0_,@function
_ZN5aiter22opus_moe_sorting_entryINS_32MoeSortingMultiPhaseKernel_P0_v2INS_19MoeSortingProblemMpIifiLi1ELb0ELb1ELb1EEEEENS4_5KargsEEEvT0_: ; @_ZN5aiter22opus_moe_sorting_entryINS_32MoeSortingMultiPhaseKernel_P0_v2INS_19MoeSortingProblemMpIifiLi1ELb0ELb1ELb1EEEEENS4_5KargsEEEvT0_
; %bb.0:
	s_load_dwordx4 s[12:15], s[4:5], 0x0
	s_load_dwordx2 s[2:3], s[4:5], 0x10
	s_waitcnt lgkmcnt(0)
	s_load_dword s22, s[14:15], 0x0
	s_load_dwordx4 s[8:11], s[4:5], 0x20
	s_waitcnt lgkmcnt(0)
	s_add_i32 s0, s22, 31
	s_ashr_i32 s1, s0, 31
	s_lshr_b32 s1, s1, 27
	s_add_i32 s7, s0, s1
	s_andn2_b32 s7, s7, 31
	s_mul_i32 s0, s7, s6
	s_ashr_i32 s1, s0, 31
	s_lshl_b64 s[14:15], s[0:1], 2
	s_add_u32 s11, s2, s14
	s_addc_u32 s23, s3, s15
	v_cmp_gt_i32_e32 vcc, s7, v0
	s_and_saveexec_b64 s[16:17], vcc
	s_cbranch_execz .LBB51_8
; %bb.1:
	v_xad_u32 v1, v0, -1, s7
	s_movk_i32 s0, 0x5ff
	v_cmp_lt_u32_e32 vcc, s0, v1
	s_mov_b64 s[0:1], -1
	v_mov_b32_e32 v2, v0
	s_and_saveexec_b64 s[18:19], vcc
	s_cbranch_execz .LBB51_5
; %bb.2:
	v_lshrrev_b32_e32 v1, 9, v1
	v_add_u32_e32 v6, 1, v1
	v_and_b32_e32 v7, 0xfffffc, v6
	v_add_u32_e32 v1, 0x200, v0
	s_mov_b64 s[20:21], 0
	v_mov_b32_e32 v8, s23
	v_mov_b32_e32 v3, 0
	v_mov_b32_e32 v9, v7
	v_pk_mov_b32 v[4:5], v[0:1], v[0:1] op_sel:[0,1]
.LBB51_3:                               ; =>This Inner Loop Header: Depth=1
	v_mov_b32_e32 v2, v4
	v_lshlrev_b64 v[14:15], 2, v[2:3]
	v_add_u32_e32 v12, 0x400, v4
	v_mov_b32_e32 v13, v3
	v_add_co_u32_e64 v14, s[0:1], s11, v14
	v_lshlrev_b64 v[12:13], 2, v[12:13]
	v_addc_co_u32_e64 v15, s[0:1], v8, v15, s[0:1]
	v_add_u32_e32 v10, 0x400, v5
	v_mov_b32_e32 v11, v3
	v_add_u32_e32 v9, -4, v9
	v_mov_b32_e32 v2, v5
	v_add_co_u32_e64 v12, s[0:1], s11, v12
	v_lshlrev_b64 v[10:11], 2, v[10:11]
	v_cmp_eq_u32_e32 vcc, 0, v9
	v_lshlrev_b64 v[16:17], 2, v[2:3]
	v_addc_co_u32_e64 v13, s[0:1], v8, v13, s[0:1]
	v_add_u32_e32 v4, 0x800, v4
	v_add_u32_e32 v5, 0x800, v5
	v_add_co_u32_e64 v10, s[0:1], s11, v10
	s_or_b64 s[20:21], vcc, s[20:21]
	v_add_co_u32_e32 v16, vcc, s11, v16
	v_addc_co_u32_e64 v11, s[0:1], v8, v11, s[0:1]
	v_addc_co_u32_e32 v17, vcc, v8, v17, vcc
	global_store_dword v[14:15], v3, off
	global_store_dword v[16:17], v3, off
	;; [unrolled: 1-line block ×4, first 2 shown]
	s_andn2_b64 exec, exec, s[20:21]
	s_cbranch_execnz .LBB51_3
; %bb.4:
	s_or_b64 exec, exec, s[20:21]
	v_cmp_ne_u32_e32 vcc, v6, v7
	v_lshl_or_b32 v2, v7, 9, v0
	s_orn2_b64 s[0:1], vcc, exec
.LBB51_5:
	s_or_b64 exec, exec, s[18:19]
	s_and_b64 exec, exec, s[0:1]
	s_cbranch_execz .LBB51_8
; %bb.6:
	v_mov_b32_e32 v3, 0
	s_add_u32 s0, s2, s14
	v_lshlrev_b64 v[4:5], 2, v[2:3]
	s_addc_u32 s1, s3, s15
	v_mov_b32_e32 v1, s1
	v_add_co_u32_e32 v4, vcc, s0, v4
	v_addc_co_u32_e32 v5, vcc, v1, v5, vcc
	s_mov_b64 s[18:19], 0
.LBB51_7:                               ; =>This Inner Loop Header: Depth=1
	v_add_u32_e32 v2, 0x200, v2
	global_store_dword v[4:5], v3, off
	v_add_co_u32_e32 v4, vcc, 0x800, v4
	v_cmp_le_i32_e64 s[0:1], s7, v2
	s_or_b64 s[18:19], s[0:1], s[18:19]
	v_addc_co_u32_e32 v5, vcc, 0, v5, vcc
	s_andn2_b64 exec, exec, s[18:19]
	s_cbranch_execnz .LBB51_7
.LBB51_8:
	s_or_b64 exec, exec, s[16:17]
	s_load_dwordx2 s[4:5], s[4:5], 0x38
	s_mul_i32 s18, s22, s8
	v_cmp_gt_i32_e32 vcc, s18, v0
	v_lshlrev_b32_e32 v1, 2, v0
	s_waitcnt lgkmcnt(0)
	s_barrier
	s_and_saveexec_b64 s[16:17], vcc
	s_cbranch_execz .LBB51_13
; %bb.9:
	s_mov_b32 s1, 0
	s_mov_b32 s0, s9
	s_sub_i32 s19, 0, s8
	v_mad_u64_u32 v[2:3], s[8:9], v0, s9, 0
	s_lshl_b64 s[8:9], s[0:1], 9
	v_mov_b32_e32 v5, s13
	v_add_co_u32_e32 v4, vcc, s12, v1
	v_addc_co_u32_e32 v5, vcc, 0, v5, vcc
	s_mov_b64 s[12:13], 0
	v_mov_b32_e32 v7, 0
	v_mov_b32_e32 v8, s9
	;; [unrolled: 1-line block ×3, first 2 shown]
	s_branch .LBB51_11
.LBB51_10:                              ;   in Loop: Header=BB51_11 Depth=1
	s_or_b64 exec, exec, s[0:1]
	v_add_co_u32_e32 v2, vcc, s8, v2
	v_add_u32_e32 v9, 0x200, v9
	v_addc_co_u32_e32 v3, vcc, v3, v8, vcc
	v_add_co_u32_e32 v4, vcc, 0x800, v4
	v_cmp_le_i32_e64 s[0:1], s18, v9
	s_or_b64 s[12:13], s[0:1], s[12:13]
	v_addc_co_u32_e32 v5, vcc, 0, v5, vcc
	s_andn2_b64 exec, exec, s[12:13]
	s_cbranch_execz .LBB51_13
.LBB51_11:                              ; =>This Inner Loop Header: Depth=1
	global_load_dword v10, v[4:5], off
	v_add_u32_e32 v6, v9, v3
	v_lshrrev_b32_e32 v6, s10, v6
	v_cmp_gt_i32_e64 s[0:1], s22, v6
	s_waitcnt vmcnt(0)
	v_cmp_eq_u32_e32 vcc, s6, v10
	s_and_b64 s[20:21], vcc, s[0:1]
	s_and_saveexec_b64 s[0:1], s[20:21]
	s_cbranch_execz .LBB51_10
; %bb.12:                               ;   in Loop: Header=BB51_11 Depth=1
	v_mul_lo_u32 v10, s19, v6
	v_add3_u32 v10, v9, v10, 1
	v_and_b32_e32 v12, 0xffff, v10
	v_lshlrev_b64 v[10:11], 2, v[6:7]
	v_mov_b32_e32 v6, s23
	v_add_co_u32_e32 v10, vcc, s11, v10
	v_addc_co_u32_e32 v11, vcc, v6, v11, vcc
	global_store_dword v[10:11], v12, off
	s_branch .LBB51_10
.LBB51_13:
	s_or_b64 exec, exec, s[16:17]
	s_cmp_lt_i32 s22, 1
	s_barrier
	s_cbranch_scc1 .LBB51_18
; %bb.14:
	s_add_i32 s0, s7, 0x1ff
	s_lshr_b32 s0, s0, 9
	v_mbcnt_lo_u32_b32 v2, -1, 0
	s_max_u32 s8, s0, 1
	v_mbcnt_hi_u32_b32 v2, -1, v2
	s_add_u32 s0, s2, s14
	v_lshlrev_b32_e32 v2, 2, v2
	s_addc_u32 s1, s3, s15
	v_xor_b32_e32 v5, 4, v2
	v_xor_b32_e32 v6, 8, v2
	;; [unrolled: 1-line block ×6, first 2 shown]
	v_mov_b32_e32 v3, s1
	v_add_co_u32_e32 v2, vcc, s0, v1
	v_mov_b32_e32 v4, 0
	v_addc_co_u32_e32 v3, vcc, 0, v3, vcc
	v_mov_b32_e32 v1, v0
	s_branch .LBB51_16
.LBB51_15:                              ;   in Loop: Header=BB51_16 Depth=1
	s_or_b64 exec, exec, s[0:1]
	s_waitcnt vmcnt(0)
	v_cmp_ne_u32_e32 vcc, 0, v11
	v_cndmask_b32_e64 v11, 0, 1, vcc
	ds_bpermute_b32 v11, v5, v11
	s_add_i32 s8, s8, -1
	s_cmp_eq_u32 s8, 0
	v_add_u32_e32 v1, 0x200, v1
	s_waitcnt lgkmcnt(0)
	v_addc_co_u32_e64 v12, s[0:1], 0, v11, vcc
	ds_bpermute_b32 v12, v6, v12
	s_waitcnt lgkmcnt(0)
	v_addc_co_u32_e32 v11, vcc, v12, v11, vcc
	ds_bpermute_b32 v12, v7, v11
	v_add_co_u32_e32 v2, vcc, 0x800, v2
	v_addc_co_u32_e32 v3, vcc, 0, v3, vcc
	s_waitcnt lgkmcnt(0)
	v_add_u32_e32 v11, v11, v12
	ds_bpermute_b32 v12, v8, v11
	s_waitcnt lgkmcnt(0)
	v_add_u32_e32 v11, v11, v12
	ds_bpermute_b32 v12, v9, v11
	;; [unrolled: 3-line block ×3, first 2 shown]
	s_waitcnt lgkmcnt(0)
	v_add3_u32 v4, v12, v4, v11
	s_cbranch_scc1 .LBB51_19
.LBB51_16:                              ; =>This Inner Loop Header: Depth=1
	v_cmp_gt_i32_e32 vcc, s7, v1
	v_mov_b32_e32 v11, 0
	s_and_saveexec_b64 s[0:1], vcc
	s_cbranch_execz .LBB51_15
; %bb.17:                               ;   in Loop: Header=BB51_16 Depth=1
	global_load_dword v11, v[2:3], off
	s_branch .LBB51_15
.LBB51_18:
	v_mov_b32_e32 v4, 0
.LBB51_19:
	v_and_b32_e32 v1, 63, v0
	v_cmp_eq_u32_e32 vcc, 0, v1
	s_and_saveexec_b64 s[0:1], vcc
	s_cbranch_execz .LBB51_21
; %bb.20:
	v_lshrrev_b32_e32 v1, 4, v0
	v_and_b32_e32 v1, 60, v1
	ds_write_b32 v1, v4
.LBB51_21:
	s_or_b64 exec, exec, s[0:1]
	v_cmp_eq_u32_e32 vcc, 0, v0
	s_waitcnt lgkmcnt(0)
	s_barrier
	s_and_saveexec_b64 s[0:1], vcc
	s_cbranch_execz .LBB51_23
; %bb.22:
	v_mov_b32_e32 v8, 0
	ds_read_b128 v[0:3], v8
	ds_read_b128 v[4:7], v8 offset:16
	s_ashr_i32 s7, s6, 31
	s_lshl_b64 s[0:1], s[6:7], 2
	s_add_u32 s0, s4, s0
	s_waitcnt lgkmcnt(1)
	v_add_u32_e32 v0, v1, v0
	v_add_u32_e32 v0, v0, v2
	;; [unrolled: 1-line block ×3, first 2 shown]
	s_waitcnt lgkmcnt(0)
	v_add_u32_e32 v0, v0, v4
	v_add_u32_e32 v0, v0, v5
	;; [unrolled: 1-line block ×4, first 2 shown]
	s_addc_u32 s1, s5, s1
	global_store_dword v8, v0, s[0:1]
.LBB51_23:
	s_endpgm
	.section	.rodata,"a",@progbits
	.p2align	6, 0x0
	.amdhsa_kernel _ZN5aiter22opus_moe_sorting_entryINS_32MoeSortingMultiPhaseKernel_P0_v2INS_19MoeSortingProblemMpIifiLi1ELb0ELb1ELb1EEEEENS4_5KargsEEEvT0_
		.amdhsa_group_segment_fixed_size 32
		.amdhsa_private_segment_fixed_size 0
		.amdhsa_kernarg_size 72
		.amdhsa_user_sgpr_count 6
		.amdhsa_user_sgpr_private_segment_buffer 1
		.amdhsa_user_sgpr_dispatch_ptr 0
		.amdhsa_user_sgpr_queue_ptr 0
		.amdhsa_user_sgpr_kernarg_segment_ptr 1
		.amdhsa_user_sgpr_dispatch_id 0
		.amdhsa_user_sgpr_flat_scratch_init 0
		.amdhsa_user_sgpr_kernarg_preload_length 0
		.amdhsa_user_sgpr_kernarg_preload_offset 0
		.amdhsa_user_sgpr_private_segment_size 0
		.amdhsa_uses_dynamic_stack 0
		.amdhsa_system_sgpr_private_segment_wavefront_offset 0
		.amdhsa_system_sgpr_workgroup_id_x 1
		.amdhsa_system_sgpr_workgroup_id_y 0
		.amdhsa_system_sgpr_workgroup_id_z 0
		.amdhsa_system_sgpr_workgroup_info 0
		.amdhsa_system_vgpr_workitem_id 0
		.amdhsa_next_free_vgpr 18
		.amdhsa_next_free_sgpr 24
		.amdhsa_accum_offset 20
		.amdhsa_reserve_vcc 1
		.amdhsa_reserve_flat_scratch 0
		.amdhsa_float_round_mode_32 0
		.amdhsa_float_round_mode_16_64 0
		.amdhsa_float_denorm_mode_32 3
		.amdhsa_float_denorm_mode_16_64 3
		.amdhsa_dx10_clamp 1
		.amdhsa_ieee_mode 1
		.amdhsa_fp16_overflow 0
		.amdhsa_tg_split 0
		.amdhsa_exception_fp_ieee_invalid_op 0
		.amdhsa_exception_fp_denorm_src 0
		.amdhsa_exception_fp_ieee_div_zero 0
		.amdhsa_exception_fp_ieee_overflow 0
		.amdhsa_exception_fp_ieee_underflow 0
		.amdhsa_exception_fp_ieee_inexact 0
		.amdhsa_exception_int_div_zero 0
	.end_amdhsa_kernel
	.section	.text._ZN5aiter22opus_moe_sorting_entryINS_32MoeSortingMultiPhaseKernel_P0_v2INS_19MoeSortingProblemMpIifiLi1ELb0ELb1ELb1EEEEENS4_5KargsEEEvT0_,"axG",@progbits,_ZN5aiter22opus_moe_sorting_entryINS_32MoeSortingMultiPhaseKernel_P0_v2INS_19MoeSortingProblemMpIifiLi1ELb0ELb1ELb1EEEEENS4_5KargsEEEvT0_,comdat
.Lfunc_end51:
	.size	_ZN5aiter22opus_moe_sorting_entryINS_32MoeSortingMultiPhaseKernel_P0_v2INS_19MoeSortingProblemMpIifiLi1ELb0ELb1ELb1EEEEENS4_5KargsEEEvT0_, .Lfunc_end51-_ZN5aiter22opus_moe_sorting_entryINS_32MoeSortingMultiPhaseKernel_P0_v2INS_19MoeSortingProblemMpIifiLi1ELb0ELb1ELb1EEEEENS4_5KargsEEEvT0_
                                        ; -- End function
	.section	.AMDGPU.csdata,"",@progbits
; Kernel info:
; codeLenInByte = 1164
; NumSgprs: 28
; NumVgprs: 18
; NumAgprs: 0
; TotalNumVgprs: 18
; ScratchSize: 0
; MemoryBound: 0
; FloatMode: 240
; IeeeMode: 1
; LDSByteSize: 32 bytes/workgroup (compile time only)
; SGPRBlocks: 3
; VGPRBlocks: 2
; NumSGPRsForWavesPerEU: 28
; NumVGPRsForWavesPerEU: 18
; AccumOffset: 20
; Occupancy: 8
; WaveLimiterHint : 1
; COMPUTE_PGM_RSRC2:SCRATCH_EN: 0
; COMPUTE_PGM_RSRC2:USER_SGPR: 6
; COMPUTE_PGM_RSRC2:TRAP_HANDLER: 0
; COMPUTE_PGM_RSRC2:TGID_X_EN: 1
; COMPUTE_PGM_RSRC2:TGID_Y_EN: 0
; COMPUTE_PGM_RSRC2:TGID_Z_EN: 0
; COMPUTE_PGM_RSRC2:TIDIG_COMP_CNT: 0
; COMPUTE_PGM_RSRC3_GFX90A:ACCUM_OFFSET: 4
; COMPUTE_PGM_RSRC3_GFX90A:TG_SPLIT: 0
	.section	.text._ZN5aiter22opus_moe_sorting_entryINS_30MoeSortingMultiPhaseKernel_P23INS_19MoeSortingProblemMpIifiLi1ELb0ELb1ELb1EEEEENS4_5KargsEEEvT0_,"axG",@progbits,_ZN5aiter22opus_moe_sorting_entryINS_30MoeSortingMultiPhaseKernel_P23INS_19MoeSortingProblemMpIifiLi1ELb0ELb1ELb1EEEEENS4_5KargsEEEvT0_,comdat
	.protected	_ZN5aiter22opus_moe_sorting_entryINS_30MoeSortingMultiPhaseKernel_P23INS_19MoeSortingProblemMpIifiLi1ELb0ELb1ELb1EEEEENS4_5KargsEEEvT0_ ; -- Begin function _ZN5aiter22opus_moe_sorting_entryINS_30MoeSortingMultiPhaseKernel_P23INS_19MoeSortingProblemMpIifiLi1ELb0ELb1ELb1EEEEENS4_5KargsEEEvT0_
	.globl	_ZN5aiter22opus_moe_sorting_entryINS_30MoeSortingMultiPhaseKernel_P23INS_19MoeSortingProblemMpIifiLi1ELb0ELb1ELb1EEEEENS4_5KargsEEEvT0_
	.p2align	8
	.type	_ZN5aiter22opus_moe_sorting_entryINS_30MoeSortingMultiPhaseKernel_P23INS_19MoeSortingProblemMpIifiLi1ELb0ELb1ELb1EEEEENS4_5KargsEEEvT0_,@function
_ZN5aiter22opus_moe_sorting_entryINS_30MoeSortingMultiPhaseKernel_P23INS_19MoeSortingProblemMpIifiLi1ELb0ELb1ELb1EEEEENS4_5KargsEEEvT0_: ; @_ZN5aiter22opus_moe_sorting_entryINS_30MoeSortingMultiPhaseKernel_P23INS_19MoeSortingProblemMpIifiLi1ELb0ELb1ELb1EEEEENS4_5KargsEEEvT0_
; %bb.0:
	s_load_dwordx16 s[36:51], s[4:5], 0x18
	s_load_dword s7, s[4:5], 0x64
	s_mov_b64 s[0:1], -1
	s_waitcnt lgkmcnt(0)
	s_load_dword s33, s[36:37], 0x0
	s_cmp_lt_i32 s6, s7
	s_cbranch_scc1 .LBB52_5
; %bb.1:
	s_load_dwordx2 s[0:1], s[4:5], 0x84
	s_sub_i32 s8, s6, s7
	v_lshl_add_u32 v2, s8, 8, v0
	v_mov_b32_e32 v3, 0
	s_waitcnt lgkmcnt(0)
	s_ashr_i32 s2, s0, 31
	s_mul_hi_i32 s3, s1, s33
	s_mul_i32 s1, s1, s33
	s_mul_i32 s2, s1, s2
	s_mul_hi_u32 s9, s1, s0
	s_add_i32 s2, s9, s2
	s_mul_i32 s3, s3, s0
	s_add_i32 s2, s2, s3
	s_mul_i32 s1, s1, s0
	s_ashr_i32 s0, s2, 31
	s_lshr_b32 s0, s0, 28
	s_add_u32 s0, s1, s0
	s_addc_u32 s1, s2, 0
	s_ashr_i64 s[2:3], s[0:1], 4
	v_cmp_gt_i64_e32 vcc, s[2:3], v[2:3]
	s_and_saveexec_b64 s[8:9], vcc
	s_cbranch_execz .LBB52_4
; %bb.2:
	s_load_dword s0, s[4:5], 0x90
	v_lshlrev_b64 v[4:5], 4, v[2:3]
	v_mov_b32_e32 v1, s51
	v_add_co_u32_e32 v8, vcc, s50, v4
	s_waitcnt lgkmcnt(0)
	s_sub_i32 s0, s0, s7
	s_lshl_b32 s10, s0, 8
	s_ashr_i32 s11, s10, 31
	s_lshl_b64 s[12:13], s[10:11], 4
	v_pk_mov_b32 v[6:7], v[2:3], v[2:3] op_sel:[0,1]
	v_addc_co_u32_e32 v9, vcc, v1, v5, vcc
	s_mov_b64 s[14:15], 0
	v_mov_b32_e32 v2, v3
	v_mov_b32_e32 v4, v3
	v_mov_b32_e32 v5, v3
	v_mov_b32_e32 v1, s11
	v_mov_b32_e32 v10, s13
.LBB52_3:                               ; =>This Inner Loop Header: Depth=1
	v_add_co_u32_e32 v6, vcc, s10, v6
	v_addc_co_u32_e32 v7, vcc, v7, v1, vcc
	global_store_dwordx4 v[8:9], v[2:5], off
	v_add_co_u32_e32 v8, vcc, s12, v8
	v_cmp_le_i64_e64 s[0:1], s[2:3], v[6:7]
	s_or_b64 s[14:15], s[0:1], s[14:15]
	v_addc_co_u32_e32 v9, vcc, v9, v10, vcc
	s_andn2_b64 exec, exec, s[14:15]
	s_cbranch_execnz .LBB52_3
.LBB52_4:
	s_or_b64 exec, exec, s[8:9]
	s_mov_b64 s[0:1], 0
.LBB52_5:
	s_andn2_b64 vcc, exec, s[0:1]
	s_cbranch_vccnz .LBB52_60
; %bb.6:
	s_load_dwordx2 s[22:23], s[4:5], 0x58
	s_load_dwordx4 s[24:27], s[4:5], 0x6c
	s_lshl_b32 s0, s7, 2
	s_add_i32 s52, s0, 0
	s_add_i32 s52, s52, 48
	s_mov_b32 s53, 0
	v_lshrrev_b32_e32 v1, 6, v0
	s_cmp_lt_i32 s7, 1
	v_and_b32_e32 v8, 63, v0
	s_cbranch_scc1 .LBB52_29
; %bb.7:
	s_add_i32 s0, s7, 0xff
	s_lshr_b32 s54, s0, 8
	s_waitcnt lgkmcnt(0)
	s_add_i32 s55, s24, -1
	v_mbcnt_lo_u32_b32 v2, -1, 0
	v_mbcnt_hi_u32_b32 v2, -1, v2
	s_cmp_lg_u64 s[22:23], 0
	v_lshlrev_b32_e32 v3, 2, v2
	s_cselect_b64 s[16:17], -1, 0
	s_movk_i32 s14, 0xff
	v_and_b32_e32 v3, 0xc0, v3
	v_cmp_lt_u32_e64 s[0:1], 15, v2
	v_cmp_lt_u32_e64 s[2:3], 31, v2
	s_movk_i32 s10, 0x7f
	s_movk_i32 s12, 0xbf
	s_cmp_eq_u32 s6, 0
	v_cndmask_b32_e64 v2, 0, 1, s[16:17]
	v_mov_b32_e32 v9, 0
	v_add_u32_e32 v10, -4, v3
	v_add_u32_e32 v11, 0xffffffbc, v3
	v_cmp_eq_u32_e64 s[18:19], 63, v8
	v_lshl_add_u32 v12, v1, 2, 0
	v_cmp_gt_u32_e64 s[8:9], 64, v0
	v_cmp_lt_u32_e64 s[10:11], s10, v0
	v_cmp_lt_u32_e64 s[12:13], s12, v0
	v_cmp_eq_u32_e64 s[14:15], s14, v0
	s_cselect_b64 s[28:29], -1, 0
	s_add_i32 s56, s52, 4
	v_mov_b32_e32 v13, 0
	v_cmp_ne_u32_e64 s[16:17], 1, v2
	v_mov_b32_e32 v14, 0
	v_mov_b32_e32 v3, 0
.LBB52_8:                               ; =>This Loop Header: Depth=1
                                        ;     Child Loop BB52_21 Depth 2
                                        ;     Child Loop BB52_26 Depth 2
	v_lshl_add_u32 v4, s53, 8, v0
	v_cmp_gt_i32_e32 vcc, s7, v4
	v_mov_b32_e32 v2, 0
	s_and_saveexec_b64 s[30:31], vcc
	s_cbranch_execz .LBB52_10
; %bb.9:                                ;   in Loop: Header=BB52_8 Depth=1
	v_ashrrev_i32_e32 v5, 31, v4
	v_lshlrev_b64 v[6:7], 2, v[4:5]
	v_mov_b32_e32 v2, s41
	v_add_co_u32_e64 v6, s[20:21], s40, v6
	v_addc_co_u32_e64 v7, s[20:21], v2, v7, s[20:21]
	global_load_dword v2, v[6:7], off
.LBB52_10:                              ;   in Loop: Header=BB52_8 Depth=1
	s_or_b64 exec, exec, s[30:31]
	s_waitcnt vmcnt(0)
	v_add_u32_e32 v2, s55, v2
	v_mul_hi_u32 v5, v2, s25
	v_add_u32_e32 v2, v2, v5
	v_lshrrev_b32_e32 v17, s26, v2
	v_mov_b32_dpp v6, v13 row_shr:1 row_mask:0xf bank_mask:0xf bound_ctrl:1
	s_nop 0
	v_mov_b32_dpp v15, v17 row_shr:1 row_mask:0xf bank_mask:0xf bound_ctrl:1
	v_add_u32_e32 v2, v17, v15
	v_add_u32_dpp v6, v6, v6 row_shr:2 row_mask:0xf bank_mask:0xf bound_ctrl:1
	s_barrier
	v_mov_b32_dpp v16, v2 row_shr:2 row_mask:0xf bank_mask:0xf bound_ctrl:1
	v_add_u32_e32 v2, v2, v16
	v_add_u32_dpp v6, v6, v6 row_shr:4 row_mask:0xf bank_mask:0xf bound_ctrl:1
	s_nop 0
	v_mov_b32_dpp v18, v2 row_shr:4 row_mask:0xf bank_mask:0xf bound_ctrl:1
	v_add_u32_e32 v2, v2, v18
	v_add_u32_dpp v6, v6, v6 row_shr:8 row_mask:0xf bank_mask:0xf bound_ctrl:1
	ds_bpermute_b32 v7, v10, v6
	v_mov_b32_dpp v19, v2 row_shr:8 row_mask:0xf bank_mask:0xf bound_ctrl:1
	v_add_u32_e32 v2, v2, v19
	ds_bpermute_b32 v5, v10, v2
	s_waitcnt lgkmcnt(1)
	v_cndmask_b32_e64 v7, 0, v7, s[0:1]
	v_add_u32_e32 v6, v7, v6
	ds_bpermute_b32 v7, v11, v6
	s_waitcnt lgkmcnt(1)
	v_cndmask_b32_e64 v20, 0, v5, s[0:1]
	;; [unrolled: 4-line block ×3, first 2 shown]
	v_add_u32_e32 v5, v2, v21
	v_cndmask_b32_e64 v2, 0, v7, s[2:3]
	v_add_u32_e32 v2, v2, v6
	s_and_saveexec_b64 s[20:21], s[18:19]
	s_cbranch_execz .LBB52_12
; %bb.11:                               ;   in Loop: Header=BB52_8 Depth=1
	ds_write2_b32 v12, v5, v2 offset0:4 offset1:8
.LBB52_12:                              ;   in Loop: Header=BB52_8 Depth=1
	s_or_b64 exec, exec, s[20:21]
	s_waitcnt lgkmcnt(0)
	s_barrier
	ds_read2_b32 v[6:7], v9 offset0:4 offset1:5
	ds_read_b32 v24, v9 offset:24
	s_waitcnt lgkmcnt(1)
	v_cndmask_b32_e64 v22, v6, 0, s[8:9]
	v_cndmask_b32_e64 v23, 0, v7, s[10:11]
	s_waitcnt lgkmcnt(0)
	v_cndmask_b32_e64 v24, 0, v24, s[12:13]
	v_add3_u32 v5, v5, v14, v22
	v_add3_u32 v5, v5, v23, v24
	s_and_saveexec_b64 s[20:21], s[14:15]
	s_cbranch_execz .LBB52_14
; %bb.13:                               ;   in Loop: Header=BB52_8 Depth=1
	ds_read2_b32 v[6:7], v9 offset0:8 offset1:9
	ds_read_b32 v25, v9 offset:40
	s_waitcnt lgkmcnt(0)
	v_add_u32_e32 v7, v25, v7
	v_add_u32_e32 v6, v7, v6
	;; [unrolled: 1-line block ×4, first 2 shown]
	ds_write2_b32 v9, v5, v2 offset0:2 offset1:3
.LBB52_14:                              ;   in Loop: Header=BB52_8 Depth=1
	s_or_b64 exec, exec, s[20:21]
	s_waitcnt lgkmcnt(0)
	s_barrier
	ds_read2_b32 v[2:3], v9 offset0:2 offset1:3
	s_and_saveexec_b64 s[20:21], vcc
	s_cbranch_execz .LBB52_17
; %bb.15:                               ;   in Loop: Header=BB52_8 Depth=1
	v_sub_u32_e32 v5, v5, v17
	v_mul_lo_u32 v5, v5, s24
	v_lshl_add_u32 v6, v4, 2, 0
	s_and_b64 vcc, exec, s[16:17]
	ds_write_b32 v6, v5 offset:48
	s_cbranch_vccnz .LBB52_17
; %bb.16:                               ;   in Loop: Header=BB52_8 Depth=1
	v_lshl_add_u32 v5, v4, 2, s56
	ds_write_b32 v5, v4
.LBB52_17:                              ;   in Loop: Header=BB52_8 Depth=1
	s_or_b64 exec, exec, s[20:21]
	v_cmp_lt_i32_e32 vcc, 0, v17
	s_and_b64 s[30:31], s[28:29], vcc
	s_and_saveexec_b64 s[20:21], s[30:31]
	s_cbranch_execz .LBB52_27
; %bb.18:                               ;   in Loop: Header=BB52_8 Depth=1
	v_cmp_gt_u32_e64 s[30:31], 10, v17
	v_cmp_lt_u32_e32 vcc, 9, v17
	v_mov_b32_e32 v25, 0
	s_and_saveexec_b64 s[34:35], vcc
	s_cbranch_execz .LBB52_24
; %bb.19:                               ;   in Loop: Header=BB52_8 Depth=1
	v_add_u32_e32 v5, v20, v21
	v_add3_u32 v5, v5, v23, v24
	v_add3_u32 v5, v5, v22, v15
	;; [unrolled: 1-line block ×4, first 2 shown]
	v_add3_u32 v5, v17, v6, -1
	v_cmp_ge_i32_e32 vcc, v5, v6
	s_mov_b64 s[50:51], -1
	v_mov_b32_e32 v25, 0
	s_and_saveexec_b64 s[36:37], vcc
	s_cbranch_execz .LBB52_23
; %bb.20:                               ;   in Loop: Header=BB52_8 Depth=1
	v_and_b32_e32 v25, 0x7ffffffe, v17
	v_mov_b32_e32 v5, v4
	s_mov_b64 s[50:51], 0
	v_mov_b32_e32 v26, v25
.LBB52_21:                              ;   Parent Loop BB52_8 Depth=1
                                        ; =>  This Inner Loop Header: Depth=2
	v_ashrrev_i32_e32 v7, 31, v6
	v_lshlrev_b64 v[28:29], 2, v[6:7]
	v_mov_b32_e32 v7, s45
	v_add_co_u32_e32 v28, vcc, s44, v28
	v_addc_co_u32_e32 v29, vcc, v7, v29, vcc
	v_add_u32_e32 v26, -2, v26
	v_cmp_eq_u32_e32 vcc, 0, v26
	s_or_b64 s[50:51], vcc, s[50:51]
	v_add_u32_e32 v6, 2, v6
	global_store_dwordx2 v[28:29], v[4:5], off
	s_andn2_b64 exec, exec, s[50:51]
	s_cbranch_execnz .LBB52_21
; %bb.22:                               ;   in Loop: Header=BB52_8 Depth=1
	s_or_b64 exec, exec, s[50:51]
	v_cmp_ne_u32_e32 vcc, v17, v25
	s_orn2_b64 s[50:51], vcc, exec
.LBB52_23:                              ;   in Loop: Header=BB52_8 Depth=1
	s_or_b64 exec, exec, s[36:37]
	s_andn2_b64 s[30:31], s[30:31], exec
	s_and_b64 s[36:37], s[50:51], exec
	s_or_b64 s[30:31], s[30:31], s[36:37]
.LBB52_24:                              ;   in Loop: Header=BB52_8 Depth=1
	s_or_b64 exec, exec, s[34:35]
	s_and_b64 exec, exec, s[30:31]
	s_cbranch_execz .LBB52_27
; %bb.25:                               ;   in Loop: Header=BB52_8 Depth=1
	v_add3_u32 v6, v14, v20, v21
	v_add3_u32 v6, v6, v23, v24
	;; [unrolled: 1-line block ×4, first 2 shown]
	v_sub_u32_e32 v5, v17, v25
	v_add3_u32 v6, v6, v19, v25
	s_mov_b64 s[30:31], 0
.LBB52_26:                              ;   Parent Loop BB52_8 Depth=1
                                        ; =>  This Inner Loop Header: Depth=2
	v_ashrrev_i32_e32 v7, 31, v6
	v_lshlrev_b64 v[14:15], 2, v[6:7]
	v_mov_b32_e32 v7, s45
	v_add_co_u32_e32 v14, vcc, s44, v14
	v_addc_co_u32_e32 v15, vcc, v7, v15, vcc
	v_add_u32_e32 v5, -1, v5
	v_cmp_eq_u32_e32 vcc, 0, v5
	s_or_b64 s[30:31], vcc, s[30:31]
	v_add_u32_e32 v6, 1, v6
	global_store_dword v[14:15], v4, off
	s_andn2_b64 exec, exec, s[30:31]
	s_cbranch_execnz .LBB52_26
.LBB52_27:                              ;   in Loop: Header=BB52_8 Depth=1
	s_or_b64 exec, exec, s[20:21]
	s_add_i32 s53, s53, 1
	s_cmp_eq_u32 s53, s54
	s_cbranch_scc1 .LBB52_30
; %bb.28:                               ;   in Loop: Header=BB52_8 Depth=1
	s_waitcnt lgkmcnt(0)
	v_mov_b32_e32 v14, v2
	s_branch .LBB52_8
.LBB52_29:
	v_mov_b32_e32 v2, 0
.LBB52_30:
	s_load_dwordx4 s[16:19], s[4:5], 0x0
	v_cmp_eq_u32_e32 vcc, 0, v0
	s_and_saveexec_b64 s[0:1], vcc
	s_cbranch_execz .LBB52_34
; %bb.31:
	s_cmp_lg_u32 s6, 0
	s_waitcnt lgkmcnt(0)
	v_mul_lo_u32 v2, v2, s24
	s_cbranch_scc1 .LBB52_33
; %bb.32:
	v_mov_b32_e32 v4, 0
	v_mov_b32_e32 v3, s33
	global_store_dwordx2 v4, v[2:3], s[42:43]
.LBB52_33:
	v_mov_b32_e32 v3, s52
	ds_write_b32 v3, v2
.LBB52_34:
	s_or_b64 exec, exec, s[0:1]
	s_waitcnt lgkmcnt(0)
	s_cmp_eq_u64 s[22:23], 0
	s_cselect_b64 s[0:1], -1, 0
	s_cmp_lg_u32 s6, 0
	s_cselect_b64 s[2:3], -1, 0
	s_or_b64 s[0:1], s[2:3], s[0:1]
	s_and_b64 vcc, exec, s[0:1]
	s_barrier
	s_cbranch_vccnz .LBB52_39
; %bb.35:
	s_mul_i32 s4, s33, s27
	v_cmp_gt_i32_e32 vcc, s4, v0
	s_and_saveexec_b64 s[0:1], vcc
	s_cbranch_execz .LBB52_38
; %bb.36:
	v_lshlrev_b32_e32 v4, 2, v0
	v_mov_b32_e32 v3, s17
	v_add_co_u32_e32 v2, vcc, s16, v4
	v_addc_co_u32_e32 v3, vcc, 0, v3, vcc
	v_mov_b32_e32 v5, s23
	v_add_co_u32_e32 v4, vcc, s22, v4
	v_addc_co_u32_e32 v5, vcc, 0, v5, vcc
	s_mov_b64 s[2:3], 0
	v_mov_b32_e32 v6, v0
.LBB52_37:                              ; =>This Inner Loop Header: Depth=1
	global_load_dword v7, v[2:3], off
	v_add_co_u32_e32 v2, vcc, 0x400, v2
	v_add_u32_e32 v6, 0x100, v6
	v_addc_co_u32_e32 v3, vcc, 0, v3, vcc
	v_cmp_le_i32_e32 vcc, s4, v6
	s_or_b64 s[2:3], vcc, s[2:3]
	s_waitcnt vmcnt(0)
	v_max_i32_e32 v9, -1, v7
	v_cmp_gt_i32_e32 vcc, s7, v7
	v_cndmask_b32_e32 v7, -1, v9, vcc
	global_store_dword v[4:5], v7, off
	v_add_co_u32_e32 v4, vcc, 0x400, v4
	v_addc_co_u32_e32 v5, vcc, 0, v5, vcc
	s_andn2_b64 exec, exec, s[2:3]
	s_cbranch_execnz .LBB52_37
.LBB52_38:
	s_or_b64 exec, exec, s[0:1]
.LBB52_39:
	s_lshl_b32 s0, s6, 2
	s_add_i32 s0, s0, 0
	v_mov_b32_e32 v2, s0
	ds_read2_b32 v[2:3], v2 offset0:12 offset1:13
	s_waitcnt lgkmcnt(0)
	v_cmp_eq_u32_e32 vcc, v2, v3
	s_cbranch_vccnz .LBB52_60
; %bb.40:
	s_cmp_lt_i32 s33, 1
	s_cbranch_scc1 .LBB52_51
; %bb.41:
	s_add_i32 s0, s33, 31
	s_and_b32 s0, s0, 0x7fffffe0
	s_add_i32 s1, s0, 0xff
	s_mul_i32 s0, s0, s6
	v_mbcnt_lo_u32_b32 v4, -1, 0
	s_lshr_b32 s16, s1, 8
	s_ashr_i32 s1, s0, 31
	v_mbcnt_hi_u32_b32 v4, -1, v4
	s_lshl_b64 s[0:1], s[0:1], 2
	v_lshlrev_b32_e32 v5, 2, v4
	s_add_u32 s17, s38, s0
	v_and_b32_e32 v5, 0xc0, v5
	s_movk_i32 s10, 0xff
	s_addc_u32 s20, s39, s1
	v_add_u32_e32 v11, -4, v5
	v_cmp_lt_u32_e32 vcc, 15, v4
	v_add_u32_e32 v12, 0xffffffbc, v5
	v_cmp_lt_u32_e64 s[0:1], 31, v4
	s_movk_i32 s6, 0x7f
	s_movk_i32 s8, 0xbf
	v_mad_u64_u32 v[4:5], s[12:13], v0, s27, -1
	v_mov_b32_e32 v10, 0
	v_cmp_eq_u32_e64 s[2:3], 63, v8
	v_lshl_add_u32 v1, v1, 2, 0
	v_cmp_gt_u32_e64 s[4:5], 64, v0
	v_cmp_lt_u32_e64 s[6:7], s6, v0
	v_cmp_lt_u32_e64 s[8:9], s8, v0
	v_cmp_eq_u32_e64 s[10:11], s10, v0
	s_lshl_b32 s21, s27, 8
	s_mov_b32 s22, 0x4020100
	v_mov_b32_e32 v7, 0
	v_mov_b32_e32 v8, v0
	;; [unrolled: 1-line block ×3, first 2 shown]
	s_branch .LBB52_43
.LBB52_42:                              ;   in Loop: Header=BB52_43 Depth=1
	s_or_b64 exec, exec, s[14:15]
	s_add_i32 s16, s16, -1
	v_add_u32_e32 v8, 0x100, v8
	s_cmp_eq_u32 s16, 0
	v_add_u32_e32 v4, s21, v4
	s_cbranch_scc1 .LBB52_52
.LBB52_43:                              ; =>This Inner Loop Header: Depth=1
	v_cmp_gt_i32_e64 s[12:13], s33, v8
	v_mov_b32_e32 v6, 0
	s_and_saveexec_b64 s[14:15], s[12:13]
	s_cbranch_execz .LBB52_45
; %bb.44:                               ;   in Loop: Header=BB52_43 Depth=1
	v_ashrrev_i32_e32 v9, 31, v8
	v_lshlrev_b64 v[14:15], 2, v[8:9]
	v_mov_b32_e32 v6, s20
	v_add_co_u32_e64 v14, s[12:13], s17, v14
	v_addc_co_u32_e64 v15, s[12:13], v6, v15, s[12:13]
	global_load_dword v6, v[14:15], off
.LBB52_45:                              ;   in Loop: Header=BB52_43 Depth=1
	s_or_b64 exec, exec, s[14:15]
	s_waitcnt vmcnt(0)
	v_add_co_u32_e64 v9, s[12:13], -1, v6
	v_cndmask_b32_e64 v13, 0, 1, s[12:13]
	s_barrier
	s_nop 0
	v_mov_b32_dpp v14, v13 row_shr:1 row_mask:0xf bank_mask:0xf bound_ctrl:1
	v_addc_co_u32_e64 v15, s[14:15], 0, v14, s[12:13]
	s_nop 1
	v_mov_b32_dpp v15, v15 row_shr:2 row_mask:0xf bank_mask:0xf bound_ctrl:1
	v_addc_co_u32_e64 v14, s[14:15], v15, v14, s[12:13]
	s_nop 1
	v_add_u32_dpp v14, v14, v14 row_shr:4 row_mask:0xf bank_mask:0xf bound_ctrl:1
	s_nop 1
	v_add_u32_dpp v14, v14, v14 row_shr:8 row_mask:0xf bank_mask:0xf bound_ctrl:1
	ds_bpermute_b32 v15, v11, v14
	s_waitcnt lgkmcnt(0)
	v_cndmask_b32_e32 v15, 0, v15, vcc
	v_add_u32_e32 v14, v14, v15
	ds_bpermute_b32 v15, v12, v14
	s_waitcnt lgkmcnt(0)
	v_cndmask_b32_e64 v15, 0, v15, s[0:1]
	v_add_u32_e32 v14, v14, v15
	s_and_saveexec_b64 s[14:15], s[2:3]
	s_cbranch_execz .LBB52_47
; %bb.46:                               ;   in Loop: Header=BB52_43 Depth=1
	ds_write_b32 v1, v14 offset:16
.LBB52_47:                              ;   in Loop: Header=BB52_43 Depth=1
	s_or_b64 exec, exec, s[14:15]
	s_waitcnt lgkmcnt(0)
	s_barrier
	ds_read2_b32 v[16:17], v10 offset0:4 offset1:5
	ds_read_b32 v15, v10 offset:24
	s_waitcnt lgkmcnt(1)
	v_cndmask_b32_e64 v16, v16, 0, s[4:5]
	v_cndmask_b32_e64 v17, 0, v17, s[6:7]
	s_waitcnt lgkmcnt(0)
	v_cndmask_b32_e64 v15, 0, v15, s[8:9]
	v_add3_u32 v5, v14, v5, v16
	v_add3_u32 v14, v5, v17, v15
	s_and_saveexec_b64 s[14:15], s[10:11]
	s_cbranch_execz .LBB52_49
; %bb.48:                               ;   in Loop: Header=BB52_43 Depth=1
	ds_write_b32 v10, v14
.LBB52_49:                              ;   in Loop: Header=BB52_43 Depth=1
	s_or_b64 exec, exec, s[14:15]
	s_waitcnt lgkmcnt(0)
	s_barrier
	ds_read_b32 v5, v10
	s_and_saveexec_b64 s[14:15], s[12:13]
	s_cbranch_execz .LBB52_42
; %bb.50:                               ;   in Loop: Header=BB52_43 Depth=1
	v_add_u32_e32 v6, v6, v4
	v_lshlrev_b64 v[16:17], 2, v[6:7]
	v_mov_b32_e32 v6, s19
	v_add_co_u32_e64 v16, s[12:13], s18, v16
	v_addc_co_u32_e64 v17, s[12:13], v6, v17, s[12:13]
	global_load_dword v6, v[16:17], off
	v_sub_u32_e32 v13, v2, v13
	v_add_u32_e32 v14, v13, v14
	v_ashrrev_i32_e32 v15, 31, v14
	v_lshlrev_b64 v[14:15], 2, v[14:15]
	v_mov_b32_e32 v13, s47
	v_add_co_u32_e64 v16, s[12:13], s46, v14
	v_perm_b32 v9, v9, v8, s22
	v_addc_co_u32_e64 v17, s[12:13], v13, v15, s[12:13]
	global_store_dword v[16:17], v9, off
	v_mov_b32_e32 v9, s49
	v_add_co_u32_e64 v14, s[12:13], s48, v14
	v_addc_co_u32_e64 v15, s[12:13], v9, v15, s[12:13]
	s_waitcnt vmcnt(1)
	global_store_dword v[14:15], v6, off
	s_branch .LBB52_42
.LBB52_51:
	v_mov_b32_e32 v5, 0
.LBB52_52:
	s_waitcnt lgkmcnt(0)
	v_add_u32_e32 v1, v5, v2
	v_add_u32_e32 v4, v1, v0
	v_cmp_lt_i32_e32 vcc, v4, v3
	s_and_saveexec_b64 s[0:1], vcc
	s_cbranch_execz .LBB52_60
; %bb.53:
	v_add_u32_e32 v5, 0x100, v4
	v_max_i32_e32 v2, v3, v5
	s_and_b32 s0, s33, 0xffffff
	s_lshl_b32 s1, s27, 24
	v_xad_u32 v0, v0, -1, v2
	s_or_b32 s6, s0, s1
	v_sub_u32_e32 v0, v0, v1
	s_movk_i32 s0, 0xff
	v_cmp_lt_u32_e32 vcc, s0, v0
	s_mov_b64 s[0:1], -1
	s_and_saveexec_b64 s[2:3], vcc
	s_cbranch_execz .LBB52_57
; %bb.54:
	v_lshrrev_b32_e32 v0, 8, v0
	v_add_u32_e32 v2, 1, v0
	v_and_b32_e32 v6, 0x1fffffe, v2
	s_mov_b64 s[4:5], 0
	v_mov_b32_e32 v7, s47
	v_mov_b32_e32 v8, s6
	;; [unrolled: 1-line block ×5, first 2 shown]
	v_pk_mov_b32 v[0:1], v[4:5], v[4:5] op_sel:[0,1]
.LBB52_55:                              ; =>This Inner Loop Header: Depth=1
	v_ashrrev_i32_e32 v15, 31, v0
	v_mov_b32_e32 v14, v0
	v_lshlrev_b64 v[14:15], 2, v[14:15]
	v_ashrrev_i32_e32 v13, 31, v1
	v_mov_b32_e32 v12, v1
	v_add_co_u32_e64 v16, s[0:1], s46, v14
	v_lshlrev_b64 v[12:13], 2, v[12:13]
	v_addc_co_u32_e64 v17, s[0:1], v7, v15, s[0:1]
	v_add_co_u32_e64 v18, s[0:1], s46, v12
	v_addc_co_u32_e64 v19, s[0:1], v7, v13, s[0:1]
	v_add_u32_e32 v11, -2, v11
	v_add_co_u32_e64 v14, s[0:1], s48, v14
	v_cmp_eq_u32_e32 vcc, 0, v11
	v_addc_co_u32_e64 v15, s[0:1], v9, v15, s[0:1]
	v_add_u32_e32 v1, 0x200, v1
	v_add_u32_e32 v0, 0x200, v0
	v_add_co_u32_e64 v12, s[0:1], s48, v12
	s_or_b64 s[4:5], vcc, s[4:5]
	v_addc_co_u32_e64 v13, s[0:1], v9, v13, s[0:1]
	global_store_dword v[16:17], v8, off
	global_store_dword v[18:19], v8, off
	;; [unrolled: 1-line block ×4, first 2 shown]
	s_andn2_b64 exec, exec, s[4:5]
	s_cbranch_execnz .LBB52_55
; %bb.56:
	s_or_b64 exec, exec, s[4:5]
	v_cmp_ne_u32_e32 vcc, v2, v6
	v_lshl_add_u32 v4, v6, 8, v4
	s_orn2_b64 s[0:1], vcc, exec
.LBB52_57:
	s_or_b64 exec, exec, s[2:3]
	s_and_b64 exec, exec, s[0:1]
	s_cbranch_execz .LBB52_60
; %bb.58:
	v_ashrrev_i32_e32 v5, 31, v4
	v_lshlrev_b64 v[6:7], 2, v[4:5]
	v_mov_b32_e32 v1, s47
	v_add_co_u32_e32 v0, vcc, s46, v6
	v_addc_co_u32_e32 v1, vcc, v1, v7, vcc
	v_mov_b32_e32 v2, s49
	v_add_co_u32_e32 v6, vcc, s48, v6
	v_addc_co_u32_e32 v7, vcc, v2, v7, vcc
	s_mov_b64 s[2:3], 0
	v_mov_b32_e32 v2, s6
	v_mov_b32_e32 v5, 0
.LBB52_59:                              ; =>This Inner Loop Header: Depth=1
	global_store_dword v[0:1], v2, off
	global_store_dword v[6:7], v5, off
	v_add_co_u32_e32 v0, vcc, 0x400, v0
	v_add_u32_e32 v4, 0x100, v4
	v_addc_co_u32_e32 v1, vcc, 0, v1, vcc
	v_add_co_u32_e32 v6, vcc, 0x400, v6
	v_cmp_ge_i32_e64 s[0:1], v4, v3
	s_or_b64 s[2:3], s[0:1], s[2:3]
	v_addc_co_u32_e32 v7, vcc, 0, v7, vcc
	s_andn2_b64 exec, exec, s[2:3]
	s_cbranch_execnz .LBB52_59
.LBB52_60:
	s_endpgm
	.section	.rodata,"a",@progbits
	.p2align	6, 0x0
	.amdhsa_kernel _ZN5aiter22opus_moe_sorting_entryINS_30MoeSortingMultiPhaseKernel_P23INS_19MoeSortingProblemMpIifiLi1ELb0ELb1ELb1EEEEENS4_5KargsEEEvT0_
		.amdhsa_group_segment_fixed_size 0
		.amdhsa_private_segment_fixed_size 0
		.amdhsa_kernarg_size 400
		.amdhsa_user_sgpr_count 6
		.amdhsa_user_sgpr_private_segment_buffer 1
		.amdhsa_user_sgpr_dispatch_ptr 0
		.amdhsa_user_sgpr_queue_ptr 0
		.amdhsa_user_sgpr_kernarg_segment_ptr 1
		.amdhsa_user_sgpr_dispatch_id 0
		.amdhsa_user_sgpr_flat_scratch_init 0
		.amdhsa_user_sgpr_kernarg_preload_length 0
		.amdhsa_user_sgpr_kernarg_preload_offset 0
		.amdhsa_user_sgpr_private_segment_size 0
		.amdhsa_uses_dynamic_stack 0
		.amdhsa_system_sgpr_private_segment_wavefront_offset 0
		.amdhsa_system_sgpr_workgroup_id_x 1
		.amdhsa_system_sgpr_workgroup_id_y 0
		.amdhsa_system_sgpr_workgroup_id_z 0
		.amdhsa_system_sgpr_workgroup_info 0
		.amdhsa_system_vgpr_workitem_id 0
		.amdhsa_next_free_vgpr 30
		.amdhsa_next_free_sgpr 57
		.amdhsa_accum_offset 32
		.amdhsa_reserve_vcc 1
		.amdhsa_reserve_flat_scratch 0
		.amdhsa_float_round_mode_32 0
		.amdhsa_float_round_mode_16_64 0
		.amdhsa_float_denorm_mode_32 3
		.amdhsa_float_denorm_mode_16_64 3
		.amdhsa_dx10_clamp 1
		.amdhsa_ieee_mode 1
		.amdhsa_fp16_overflow 0
		.amdhsa_tg_split 0
		.amdhsa_exception_fp_ieee_invalid_op 0
		.amdhsa_exception_fp_denorm_src 0
		.amdhsa_exception_fp_ieee_div_zero 0
		.amdhsa_exception_fp_ieee_overflow 0
		.amdhsa_exception_fp_ieee_underflow 0
		.amdhsa_exception_fp_ieee_inexact 0
		.amdhsa_exception_int_div_zero 0
	.end_amdhsa_kernel
	.section	.text._ZN5aiter22opus_moe_sorting_entryINS_30MoeSortingMultiPhaseKernel_P23INS_19MoeSortingProblemMpIifiLi1ELb0ELb1ELb1EEEEENS4_5KargsEEEvT0_,"axG",@progbits,_ZN5aiter22opus_moe_sorting_entryINS_30MoeSortingMultiPhaseKernel_P23INS_19MoeSortingProblemMpIifiLi1ELb0ELb1ELb1EEEEENS4_5KargsEEEvT0_,comdat
.Lfunc_end52:
	.size	_ZN5aiter22opus_moe_sorting_entryINS_30MoeSortingMultiPhaseKernel_P23INS_19MoeSortingProblemMpIifiLi1ELb0ELb1ELb1EEEEENS4_5KargsEEEvT0_, .Lfunc_end52-_ZN5aiter22opus_moe_sorting_entryINS_30MoeSortingMultiPhaseKernel_P23INS_19MoeSortingProblemMpIifiLi1ELb0ELb1ELb1EEEEENS4_5KargsEEEvT0_
                                        ; -- End function
	.section	.AMDGPU.csdata,"",@progbits
; Kernel info:
; codeLenInByte = 2796
; NumSgprs: 61
; NumVgprs: 30
; NumAgprs: 0
; TotalNumVgprs: 30
; ScratchSize: 0
; MemoryBound: 0
; FloatMode: 240
; IeeeMode: 1
; LDSByteSize: 0 bytes/workgroup (compile time only)
; SGPRBlocks: 7
; VGPRBlocks: 3
; NumSGPRsForWavesPerEU: 61
; NumVGPRsForWavesPerEU: 30
; AccumOffset: 32
; Occupancy: 8
; WaveLimiterHint : 1
; COMPUTE_PGM_RSRC2:SCRATCH_EN: 0
; COMPUTE_PGM_RSRC2:USER_SGPR: 6
; COMPUTE_PGM_RSRC2:TRAP_HANDLER: 0
; COMPUTE_PGM_RSRC2:TGID_X_EN: 1
; COMPUTE_PGM_RSRC2:TGID_Y_EN: 0
; COMPUTE_PGM_RSRC2:TGID_Z_EN: 0
; COMPUTE_PGM_RSRC2:TIDIG_COMP_CNT: 0
; COMPUTE_PGM_RSRC3_GFX90A:ACCUM_OFFSET: 7
; COMPUTE_PGM_RSRC3_GFX90A:TG_SPLIT: 0
	.section	.text._ZN5aiter22opus_moe_sorting_entryINS_32MoeSortingMultiPhaseKernel_P0_v2INS_19MoeSortingProblemMpIifiLi1ELb0ELb0ELb1EEEEENS4_5KargsEEEvT0_,"axG",@progbits,_ZN5aiter22opus_moe_sorting_entryINS_32MoeSortingMultiPhaseKernel_P0_v2INS_19MoeSortingProblemMpIifiLi1ELb0ELb0ELb1EEEEENS4_5KargsEEEvT0_,comdat
	.protected	_ZN5aiter22opus_moe_sorting_entryINS_32MoeSortingMultiPhaseKernel_P0_v2INS_19MoeSortingProblemMpIifiLi1ELb0ELb0ELb1EEEEENS4_5KargsEEEvT0_ ; -- Begin function _ZN5aiter22opus_moe_sorting_entryINS_32MoeSortingMultiPhaseKernel_P0_v2INS_19MoeSortingProblemMpIifiLi1ELb0ELb0ELb1EEEEENS4_5KargsEEEvT0_
	.globl	_ZN5aiter22opus_moe_sorting_entryINS_32MoeSortingMultiPhaseKernel_P0_v2INS_19MoeSortingProblemMpIifiLi1ELb0ELb0ELb1EEEEENS4_5KargsEEEvT0_
	.p2align	8
	.type	_ZN5aiter22opus_moe_sorting_entryINS_32MoeSortingMultiPhaseKernel_P0_v2INS_19MoeSortingProblemMpIifiLi1ELb0ELb0ELb1EEEEENS4_5KargsEEEvT0_,@function
_ZN5aiter22opus_moe_sorting_entryINS_32MoeSortingMultiPhaseKernel_P0_v2INS_19MoeSortingProblemMpIifiLi1ELb0ELb0ELb1EEEEENS4_5KargsEEEvT0_: ; @_ZN5aiter22opus_moe_sorting_entryINS_32MoeSortingMultiPhaseKernel_P0_v2INS_19MoeSortingProblemMpIifiLi1ELb0ELb0ELb1EEEEENS4_5KargsEEEvT0_
; %bb.0:
	s_load_dwordx4 s[8:11], s[4:5], 0x18
	s_load_dwordx2 s[2:3], s[4:5], 0x10
	s_load_dword s7, s[4:5], 0x28
	s_waitcnt lgkmcnt(0)
	s_mul_i32 s0, s9, s6
	s_ashr_i32 s1, s0, 31
	s_lshl_b64 s[12:13], s[0:1], 2
	s_add_u32 s20, s2, s12
	s_addc_u32 s21, s3, s13
	v_cmp_gt_i32_e32 vcc, s9, v0
	s_and_saveexec_b64 s[14:15], vcc
	s_cbranch_execz .LBB53_8
; %bb.1:
	v_xad_u32 v1, v0, -1, s9
	s_movk_i32 s0, 0x5ff
	v_cmp_lt_u32_e32 vcc, s0, v1
	s_mov_b64 s[0:1], -1
	v_mov_b32_e32 v2, v0
	s_and_saveexec_b64 s[16:17], vcc
	s_cbranch_execz .LBB53_5
; %bb.2:
	v_lshrrev_b32_e32 v1, 9, v1
	v_add_u32_e32 v6, 1, v1
	v_and_b32_e32 v7, 0xfffffc, v6
	v_add_u32_e32 v1, 0x200, v0
	s_mov_b64 s[18:19], 0
	v_mov_b32_e32 v8, s21
	v_mov_b32_e32 v3, 0
	;; [unrolled: 1-line block ×3, first 2 shown]
	v_pk_mov_b32 v[4:5], v[0:1], v[0:1] op_sel:[0,1]
.LBB53_3:                               ; =>This Inner Loop Header: Depth=1
	v_mov_b32_e32 v2, v4
	v_lshlrev_b64 v[14:15], 2, v[2:3]
	v_add_u32_e32 v12, 0x400, v4
	v_mov_b32_e32 v13, v3
	v_add_co_u32_e64 v14, s[0:1], s20, v14
	v_lshlrev_b64 v[12:13], 2, v[12:13]
	v_addc_co_u32_e64 v15, s[0:1], v8, v15, s[0:1]
	v_add_u32_e32 v10, 0x400, v5
	v_mov_b32_e32 v11, v3
	v_add_u32_e32 v9, -4, v9
	v_mov_b32_e32 v2, v5
	v_add_co_u32_e64 v12, s[0:1], s20, v12
	v_lshlrev_b64 v[10:11], 2, v[10:11]
	v_cmp_eq_u32_e32 vcc, 0, v9
	v_lshlrev_b64 v[16:17], 2, v[2:3]
	v_addc_co_u32_e64 v13, s[0:1], v8, v13, s[0:1]
	v_add_u32_e32 v4, 0x800, v4
	v_add_u32_e32 v5, 0x800, v5
	v_add_co_u32_e64 v10, s[0:1], s20, v10
	s_or_b64 s[18:19], vcc, s[18:19]
	v_add_co_u32_e32 v16, vcc, s20, v16
	v_addc_co_u32_e64 v11, s[0:1], v8, v11, s[0:1]
	v_addc_co_u32_e32 v17, vcc, v8, v17, vcc
	global_store_dword v[14:15], v3, off
	global_store_dword v[16:17], v3, off
	;; [unrolled: 1-line block ×4, first 2 shown]
	s_andn2_b64 exec, exec, s[18:19]
	s_cbranch_execnz .LBB53_3
; %bb.4:
	s_or_b64 exec, exec, s[18:19]
	v_cmp_ne_u32_e32 vcc, v6, v7
	v_lshl_or_b32 v2, v7, 9, v0
	s_orn2_b64 s[0:1], vcc, exec
.LBB53_5:
	s_or_b64 exec, exec, s[16:17]
	s_and_b64 exec, exec, s[0:1]
	s_cbranch_execz .LBB53_8
; %bb.6:
	v_mov_b32_e32 v3, 0
	s_add_u32 s0, s2, s12
	v_lshlrev_b64 v[4:5], 2, v[2:3]
	s_addc_u32 s1, s3, s13
	v_mov_b32_e32 v1, s1
	v_add_co_u32_e32 v4, vcc, s0, v4
	v_addc_co_u32_e32 v5, vcc, v1, v5, vcc
	s_mov_b64 s[16:17], 0
.LBB53_7:                               ; =>This Inner Loop Header: Depth=1
	v_add_u32_e32 v2, 0x200, v2
	global_store_dword v[4:5], v3, off
	v_add_co_u32_e32 v4, vcc, 0x800, v4
	v_cmp_le_i32_e64 s[0:1], s9, v2
	s_or_b64 s[16:17], s[0:1], s[16:17]
	v_addc_co_u32_e32 v5, vcc, 0, v5, vcc
	s_andn2_b64 exec, exec, s[16:17]
	s_cbranch_execnz .LBB53_7
.LBB53_8:
	s_or_b64 exec, exec, s[14:15]
	s_load_dwordx2 s[14:15], s[4:5], 0x38
	s_mul_i32 s8, s10, s8
	v_cmp_gt_i32_e32 vcc, s8, v0
	v_lshlrev_b32_e32 v1, 2, v0
	s_waitcnt lgkmcnt(0)
	s_barrier
	s_and_saveexec_b64 s[16:17], vcc
	s_cbranch_execz .LBB53_13
; %bb.9:
	s_load_dwordx2 s[0:1], s[4:5], 0x0
	s_mov_b32 s5, 0
	s_mov_b32 s4, s11
	s_sub_i32 s18, 0, s10
	v_mad_u64_u32 v[2:3], s[10:11], v0, s11, 0
	s_lshl_b64 s[4:5], s[4:5], 9
	s_waitcnt lgkmcnt(0)
	v_mov_b32_e32 v5, s1
	v_add_co_u32_e32 v4, vcc, s0, v1
	v_addc_co_u32_e32 v5, vcc, 0, v5, vcc
	s_mov_b64 s[10:11], 0
	v_mov_b32_e32 v7, 0
	v_mov_b32_e32 v8, s5
	;; [unrolled: 1-line block ×3, first 2 shown]
	s_branch .LBB53_11
.LBB53_10:                              ;   in Loop: Header=BB53_11 Depth=1
	s_or_b64 exec, exec, s[0:1]
	v_add_co_u32_e32 v2, vcc, s4, v2
	v_add_u32_e32 v9, 0x200, v9
	v_addc_co_u32_e32 v3, vcc, v3, v8, vcc
	v_add_co_u32_e32 v4, vcc, 0x800, v4
	v_cmp_le_i32_e64 s[0:1], s8, v9
	s_or_b64 s[10:11], s[0:1], s[10:11]
	v_addc_co_u32_e32 v5, vcc, 0, v5, vcc
	s_andn2_b64 exec, exec, s[10:11]
	s_cbranch_execz .LBB53_13
.LBB53_11:                              ; =>This Inner Loop Header: Depth=1
	global_load_dword v6, v[4:5], off
	s_waitcnt vmcnt(0)
	v_cmp_eq_u32_e32 vcc, s6, v6
	s_and_saveexec_b64 s[0:1], vcc
	s_cbranch_execz .LBB53_10
; %bb.12:                               ;   in Loop: Header=BB53_11 Depth=1
	v_add_u32_e32 v6, v9, v3
	v_lshrrev_b32_e32 v6, s7, v6
	v_mul_lo_u32 v10, s18, v6
	v_add3_u32 v10, v9, v10, 1
	v_and_b32_e32 v12, 0xffff, v10
	v_lshlrev_b64 v[10:11], 2, v[6:7]
	v_mov_b32_e32 v6, s21
	v_add_co_u32_e32 v10, vcc, s20, v10
	v_addc_co_u32_e32 v11, vcc, v6, v11, vcc
	global_store_dword v[10:11], v12, off
	s_branch .LBB53_10
.LBB53_13:
	s_or_b64 exec, exec, s[16:17]
	s_cmp_lt_i32 s9, 1
	s_barrier
	s_cbranch_scc1 .LBB53_18
; %bb.14:
	s_add_i32 s0, s9, 0x1ff
	s_lshr_b32 s4, s0, 9
	v_mbcnt_lo_u32_b32 v2, -1, 0
	v_mbcnt_hi_u32_b32 v2, -1, v2
	s_add_u32 s0, s2, s12
	v_lshlrev_b32_e32 v2, 2, v2
	s_addc_u32 s1, s3, s13
	v_xor_b32_e32 v5, 4, v2
	v_xor_b32_e32 v6, 8, v2
	;; [unrolled: 1-line block ×6, first 2 shown]
	v_mov_b32_e32 v3, s1
	v_add_co_u32_e32 v2, vcc, s0, v1
	v_mov_b32_e32 v4, 0
	v_addc_co_u32_e32 v3, vcc, 0, v3, vcc
	v_mov_b32_e32 v1, v0
	s_branch .LBB53_16
.LBB53_15:                              ;   in Loop: Header=BB53_16 Depth=1
	s_or_b64 exec, exec, s[0:1]
	s_waitcnt vmcnt(0)
	v_cmp_ne_u32_e32 vcc, 0, v11
	v_cndmask_b32_e64 v11, 0, 1, vcc
	ds_bpermute_b32 v11, v5, v11
	s_add_i32 s4, s4, -1
	s_cmp_eq_u32 s4, 0
	v_add_u32_e32 v1, 0x200, v1
	s_waitcnt lgkmcnt(0)
	v_addc_co_u32_e64 v12, s[0:1], 0, v11, vcc
	ds_bpermute_b32 v12, v6, v12
	s_waitcnt lgkmcnt(0)
	v_addc_co_u32_e32 v11, vcc, v12, v11, vcc
	ds_bpermute_b32 v12, v7, v11
	v_add_co_u32_e32 v2, vcc, 0x800, v2
	v_addc_co_u32_e32 v3, vcc, 0, v3, vcc
	s_waitcnt lgkmcnt(0)
	v_add_u32_e32 v11, v11, v12
	ds_bpermute_b32 v12, v8, v11
	s_waitcnt lgkmcnt(0)
	v_add_u32_e32 v11, v11, v12
	ds_bpermute_b32 v12, v9, v11
	;; [unrolled: 3-line block ×3, first 2 shown]
	s_waitcnt lgkmcnt(0)
	v_add3_u32 v4, v12, v4, v11
	s_cbranch_scc1 .LBB53_19
.LBB53_16:                              ; =>This Inner Loop Header: Depth=1
	v_cmp_gt_i32_e32 vcc, s9, v1
	v_mov_b32_e32 v11, 0
	s_and_saveexec_b64 s[0:1], vcc
	s_cbranch_execz .LBB53_15
; %bb.17:                               ;   in Loop: Header=BB53_16 Depth=1
	global_load_dword v11, v[2:3], off
	s_branch .LBB53_15
.LBB53_18:
	v_mov_b32_e32 v4, 0
.LBB53_19:
	v_and_b32_e32 v1, 63, v0
	v_cmp_eq_u32_e32 vcc, 0, v1
	s_and_saveexec_b64 s[0:1], vcc
	s_cbranch_execz .LBB53_21
; %bb.20:
	v_lshrrev_b32_e32 v1, 4, v0
	v_and_b32_e32 v1, 60, v1
	ds_write_b32 v1, v4
.LBB53_21:
	s_or_b64 exec, exec, s[0:1]
	v_cmp_eq_u32_e32 vcc, 0, v0
	s_waitcnt lgkmcnt(0)
	s_barrier
	s_and_saveexec_b64 s[0:1], vcc
	s_cbranch_execz .LBB53_23
; %bb.22:
	v_mov_b32_e32 v8, 0
	ds_read_b128 v[0:3], v8
	ds_read_b128 v[4:7], v8 offset:16
	s_ashr_i32 s7, s6, 31
	s_lshl_b64 s[0:1], s[6:7], 2
	s_add_u32 s0, s14, s0
	s_waitcnt lgkmcnt(1)
	v_add_u32_e32 v0, v1, v0
	v_add_u32_e32 v0, v0, v2
	;; [unrolled: 1-line block ×3, first 2 shown]
	s_waitcnt lgkmcnt(0)
	v_add_u32_e32 v0, v0, v4
	v_add_u32_e32 v0, v0, v5
	;; [unrolled: 1-line block ×4, first 2 shown]
	s_addc_u32 s1, s15, s1
	global_store_dword v8, v0, s[0:1]
.LBB53_23:
	s_endpgm
	.section	.rodata,"a",@progbits
	.p2align	6, 0x0
	.amdhsa_kernel _ZN5aiter22opus_moe_sorting_entryINS_32MoeSortingMultiPhaseKernel_P0_v2INS_19MoeSortingProblemMpIifiLi1ELb0ELb0ELb1EEEEENS4_5KargsEEEvT0_
		.amdhsa_group_segment_fixed_size 32
		.amdhsa_private_segment_fixed_size 0
		.amdhsa_kernarg_size 72
		.amdhsa_user_sgpr_count 6
		.amdhsa_user_sgpr_private_segment_buffer 1
		.amdhsa_user_sgpr_dispatch_ptr 0
		.amdhsa_user_sgpr_queue_ptr 0
		.amdhsa_user_sgpr_kernarg_segment_ptr 1
		.amdhsa_user_sgpr_dispatch_id 0
		.amdhsa_user_sgpr_flat_scratch_init 0
		.amdhsa_user_sgpr_kernarg_preload_length 0
		.amdhsa_user_sgpr_kernarg_preload_offset 0
		.amdhsa_user_sgpr_private_segment_size 0
		.amdhsa_uses_dynamic_stack 0
		.amdhsa_system_sgpr_private_segment_wavefront_offset 0
		.amdhsa_system_sgpr_workgroup_id_x 1
		.amdhsa_system_sgpr_workgroup_id_y 0
		.amdhsa_system_sgpr_workgroup_id_z 0
		.amdhsa_system_sgpr_workgroup_info 0
		.amdhsa_system_vgpr_workitem_id 0
		.amdhsa_next_free_vgpr 18
		.amdhsa_next_free_sgpr 22
		.amdhsa_accum_offset 20
		.amdhsa_reserve_vcc 1
		.amdhsa_reserve_flat_scratch 0
		.amdhsa_float_round_mode_32 0
		.amdhsa_float_round_mode_16_64 0
		.amdhsa_float_denorm_mode_32 3
		.amdhsa_float_denorm_mode_16_64 3
		.amdhsa_dx10_clamp 1
		.amdhsa_ieee_mode 1
		.amdhsa_fp16_overflow 0
		.amdhsa_tg_split 0
		.amdhsa_exception_fp_ieee_invalid_op 0
		.amdhsa_exception_fp_denorm_src 0
		.amdhsa_exception_fp_ieee_div_zero 0
		.amdhsa_exception_fp_ieee_overflow 0
		.amdhsa_exception_fp_ieee_underflow 0
		.amdhsa_exception_fp_ieee_inexact 0
		.amdhsa_exception_int_div_zero 0
	.end_amdhsa_kernel
	.section	.text._ZN5aiter22opus_moe_sorting_entryINS_32MoeSortingMultiPhaseKernel_P0_v2INS_19MoeSortingProblemMpIifiLi1ELb0ELb0ELb1EEEEENS4_5KargsEEEvT0_,"axG",@progbits,_ZN5aiter22opus_moe_sorting_entryINS_32MoeSortingMultiPhaseKernel_P0_v2INS_19MoeSortingProblemMpIifiLi1ELb0ELb0ELb1EEEEENS4_5KargsEEEvT0_,comdat
.Lfunc_end53:
	.size	_ZN5aiter22opus_moe_sorting_entryINS_32MoeSortingMultiPhaseKernel_P0_v2INS_19MoeSortingProblemMpIifiLi1ELb0ELb0ELb1EEEEENS4_5KargsEEEvT0_, .Lfunc_end53-_ZN5aiter22opus_moe_sorting_entryINS_32MoeSortingMultiPhaseKernel_P0_v2INS_19MoeSortingProblemMpIifiLi1ELb0ELb0ELb1EEEEENS4_5KargsEEEvT0_
                                        ; -- End function
	.section	.AMDGPU.csdata,"",@progbits
; Kernel info:
; codeLenInByte = 1128
; NumSgprs: 26
; NumVgprs: 18
; NumAgprs: 0
; TotalNumVgprs: 18
; ScratchSize: 0
; MemoryBound: 0
; FloatMode: 240
; IeeeMode: 1
; LDSByteSize: 32 bytes/workgroup (compile time only)
; SGPRBlocks: 3
; VGPRBlocks: 2
; NumSGPRsForWavesPerEU: 26
; NumVGPRsForWavesPerEU: 18
; AccumOffset: 20
; Occupancy: 8
; WaveLimiterHint : 0
; COMPUTE_PGM_RSRC2:SCRATCH_EN: 0
; COMPUTE_PGM_RSRC2:USER_SGPR: 6
; COMPUTE_PGM_RSRC2:TRAP_HANDLER: 0
; COMPUTE_PGM_RSRC2:TGID_X_EN: 1
; COMPUTE_PGM_RSRC2:TGID_Y_EN: 0
; COMPUTE_PGM_RSRC2:TGID_Z_EN: 0
; COMPUTE_PGM_RSRC2:TIDIG_COMP_CNT: 0
; COMPUTE_PGM_RSRC3_GFX90A:ACCUM_OFFSET: 4
; COMPUTE_PGM_RSRC3_GFX90A:TG_SPLIT: 0
	.section	.text._ZN5aiter22opus_moe_sorting_entryINS_30MoeSortingMultiPhaseKernel_P23INS_19MoeSortingProblemMpIifiLi1ELb0ELb0ELb1EEEEENS4_5KargsEEEvT0_,"axG",@progbits,_ZN5aiter22opus_moe_sorting_entryINS_30MoeSortingMultiPhaseKernel_P23INS_19MoeSortingProblemMpIifiLi1ELb0ELb0ELb1EEEEENS4_5KargsEEEvT0_,comdat
	.protected	_ZN5aiter22opus_moe_sorting_entryINS_30MoeSortingMultiPhaseKernel_P23INS_19MoeSortingProblemMpIifiLi1ELb0ELb0ELb1EEEEENS4_5KargsEEEvT0_ ; -- Begin function _ZN5aiter22opus_moe_sorting_entryINS_30MoeSortingMultiPhaseKernel_P23INS_19MoeSortingProblemMpIifiLi1ELb0ELb0ELb1EEEEENS4_5KargsEEEvT0_
	.globl	_ZN5aiter22opus_moe_sorting_entryINS_30MoeSortingMultiPhaseKernel_P23INS_19MoeSortingProblemMpIifiLi1ELb0ELb0ELb1EEEEENS4_5KargsEEEvT0_
	.p2align	8
	.type	_ZN5aiter22opus_moe_sorting_entryINS_30MoeSortingMultiPhaseKernel_P23INS_19MoeSortingProblemMpIifiLi1ELb0ELb0ELb1EEEEENS4_5KargsEEEvT0_,@function
_ZN5aiter22opus_moe_sorting_entryINS_30MoeSortingMultiPhaseKernel_P23INS_19MoeSortingProblemMpIifiLi1ELb0ELb0ELb1EEEEENS4_5KargsEEEvT0_: ; @_ZN5aiter22opus_moe_sorting_entryINS_30MoeSortingMultiPhaseKernel_P23INS_19MoeSortingProblemMpIifiLi1ELb0ELb0ELb1EEEEENS4_5KargsEEEvT0_
; %bb.0:
	s_load_dwordx4 s[24:27], s[4:5], 0x60
	s_load_dwordx16 s[36:51], s[4:5], 0x20
	s_mov_b64 s[0:1], -1
	s_waitcnt lgkmcnt(0)
	s_cmp_lt_i32 s6, s25
	s_cbranch_scc1 .LBB54_5
; %bb.1:
	s_load_dwordx2 s[0:1], s[4:5], 0x84
	s_sub_i32 s7, s6, s25
	v_lshl_add_u32 v2, s7, 8, v0
	v_mov_b32_e32 v3, 0
	s_waitcnt lgkmcnt(0)
	s_ashr_i32 s2, s0, 31
	s_mul_hi_i32 s3, s1, s24
	s_mul_i32 s1, s1, s24
	s_mul_i32 s2, s1, s2
	s_mul_hi_u32 s8, s1, s0
	s_add_i32 s2, s8, s2
	s_mul_i32 s3, s3, s0
	s_add_i32 s2, s2, s3
	s_mul_i32 s1, s1, s0
	s_ashr_i32 s0, s2, 31
	s_lshr_b32 s0, s0, 28
	s_add_u32 s0, s1, s0
	s_addc_u32 s1, s2, 0
	s_ashr_i64 s[2:3], s[0:1], 4
	v_cmp_gt_i64_e32 vcc, s[2:3], v[2:3]
	s_and_saveexec_b64 s[8:9], vcc
	s_cbranch_execz .LBB54_4
; %bb.2:
	s_load_dword s0, s[4:5], 0x90
	v_lshlrev_b64 v[4:5], 4, v[2:3]
	v_mov_b32_e32 v1, s49
	v_add_co_u32_e32 v8, vcc, s48, v4
	s_waitcnt lgkmcnt(0)
	s_sub_i32 s0, s0, s25
	s_lshl_b32 s10, s0, 8
	s_ashr_i32 s11, s10, 31
	s_lshl_b64 s[12:13], s[10:11], 4
	v_pk_mov_b32 v[6:7], v[2:3], v[2:3] op_sel:[0,1]
	v_addc_co_u32_e32 v9, vcc, v1, v5, vcc
	s_mov_b64 s[14:15], 0
	v_mov_b32_e32 v2, v3
	v_mov_b32_e32 v4, v3
	;; [unrolled: 1-line block ×5, first 2 shown]
.LBB54_3:                               ; =>This Inner Loop Header: Depth=1
	v_add_co_u32_e32 v6, vcc, s10, v6
	v_addc_co_u32_e32 v7, vcc, v7, v1, vcc
	global_store_dwordx4 v[8:9], v[2:5], off
	v_add_co_u32_e32 v8, vcc, s12, v8
	v_cmp_le_i64_e64 s[0:1], s[2:3], v[6:7]
	s_or_b64 s[14:15], s[0:1], s[14:15]
	v_addc_co_u32_e32 v9, vcc, v9, v10, vcc
	s_andn2_b64 exec, exec, s[14:15]
	s_cbranch_execnz .LBB54_3
.LBB54_4:
	s_or_b64 exec, exec, s[8:9]
	s_mov_b64 s[0:1], 0
.LBB54_5:
	s_andn2_b64 vcc, exec, s[0:1]
	s_cbranch_vccnz .LBB54_60
; %bb.6:
	s_load_dwordx4 s[28:31], s[4:5], 0x70
	s_lshl_b32 s0, s25, 2
	s_add_i32 s7, s0, 0
	s_add_i32 s7, s7, 48
	s_waitcnt lgkmcnt(0)
	s_mov_b32 s31, 0
	v_lshrrev_b32_e32 v1, 6, v0
	s_cmp_lt_i32 s25, 1
	v_and_b32_e32 v8, 63, v0
	s_cbranch_scc1 .LBB54_29
; %bb.7:
	s_add_i32 s0, s25, 0xff
	s_lshr_b32 s33, s0, 8
	s_add_i32 s56, s27, -1
	v_mbcnt_lo_u32_b32 v2, -1, 0
	v_mbcnt_hi_u32_b32 v2, -1, v2
	s_cmp_lg_u64 s[50:51], 0
	v_lshlrev_b32_e32 v3, 2, v2
	s_cselect_b64 s[16:17], -1, 0
	s_movk_i32 s14, 0xff
	v_and_b32_e32 v3, 0xc0, v3
	v_cmp_lt_u32_e64 s[0:1], 15, v2
	v_cmp_lt_u32_e64 s[2:3], 31, v2
	s_movk_i32 s10, 0x7f
	s_movk_i32 s12, 0xbf
	s_cmp_eq_u32 s6, 0
	v_cndmask_b32_e64 v2, 0, 1, s[16:17]
	v_mov_b32_e32 v9, 0
	v_add_u32_e32 v10, -4, v3
	v_add_u32_e32 v11, 0xffffffbc, v3
	v_cmp_eq_u32_e64 s[18:19], 63, v8
	v_lshl_add_u32 v12, v1, 2, 0
	v_cmp_gt_u32_e64 s[8:9], 64, v0
	v_cmp_lt_u32_e64 s[10:11], s10, v0
	v_cmp_lt_u32_e64 s[12:13], s12, v0
	v_cmp_eq_u32_e64 s[14:15], s14, v0
	s_cselect_b64 s[22:23], -1, 0
	s_add_i32 s57, s7, 4
	v_mov_b32_e32 v13, 0
	v_cmp_ne_u32_e64 s[16:17], 1, v2
	v_mov_b32_e32 v14, 0
	v_mov_b32_e32 v3, 0
.LBB54_8:                               ; =>This Loop Header: Depth=1
                                        ;     Child Loop BB54_21 Depth 2
                                        ;     Child Loop BB54_26 Depth 2
	v_lshl_add_u32 v4, s31, 8, v0
	v_cmp_gt_i32_e32 vcc, s25, v4
	v_mov_b32_e32 v2, 0
	s_and_saveexec_b64 s[34:35], vcc
	s_cbranch_execz .LBB54_10
; %bb.9:                                ;   in Loop: Header=BB54_8 Depth=1
	v_ashrrev_i32_e32 v5, 31, v4
	v_lshlrev_b64 v[6:7], 2, v[4:5]
	v_mov_b32_e32 v2, s39
	v_add_co_u32_e64 v6, s[20:21], s38, v6
	v_addc_co_u32_e64 v7, s[20:21], v2, v7, s[20:21]
	global_load_dword v2, v[6:7], off
.LBB54_10:                              ;   in Loop: Header=BB54_8 Depth=1
	s_or_b64 exec, exec, s[34:35]
	s_waitcnt vmcnt(0)
	v_add_u32_e32 v2, s56, v2
	v_mul_hi_u32 v5, v2, s28
	v_add_u32_e32 v2, v2, v5
	v_lshrrev_b32_e32 v17, s29, v2
	v_mov_b32_dpp v6, v13 row_shr:1 row_mask:0xf bank_mask:0xf bound_ctrl:1
	s_nop 0
	v_mov_b32_dpp v15, v17 row_shr:1 row_mask:0xf bank_mask:0xf bound_ctrl:1
	v_add_u32_e32 v2, v17, v15
	v_add_u32_dpp v6, v6, v6 row_shr:2 row_mask:0xf bank_mask:0xf bound_ctrl:1
	s_barrier
	v_mov_b32_dpp v16, v2 row_shr:2 row_mask:0xf bank_mask:0xf bound_ctrl:1
	v_add_u32_e32 v2, v2, v16
	v_add_u32_dpp v6, v6, v6 row_shr:4 row_mask:0xf bank_mask:0xf bound_ctrl:1
	s_nop 0
	v_mov_b32_dpp v18, v2 row_shr:4 row_mask:0xf bank_mask:0xf bound_ctrl:1
	v_add_u32_e32 v2, v2, v18
	v_add_u32_dpp v6, v6, v6 row_shr:8 row_mask:0xf bank_mask:0xf bound_ctrl:1
	ds_bpermute_b32 v7, v10, v6
	v_mov_b32_dpp v19, v2 row_shr:8 row_mask:0xf bank_mask:0xf bound_ctrl:1
	v_add_u32_e32 v2, v2, v19
	ds_bpermute_b32 v5, v10, v2
	s_waitcnt lgkmcnt(1)
	v_cndmask_b32_e64 v7, 0, v7, s[0:1]
	v_add_u32_e32 v6, v7, v6
	ds_bpermute_b32 v7, v11, v6
	s_waitcnt lgkmcnt(1)
	v_cndmask_b32_e64 v20, 0, v5, s[0:1]
	;; [unrolled: 4-line block ×3, first 2 shown]
	v_add_u32_e32 v5, v2, v21
	v_cndmask_b32_e64 v2, 0, v7, s[2:3]
	v_add_u32_e32 v2, v2, v6
	s_and_saveexec_b64 s[20:21], s[18:19]
	s_cbranch_execz .LBB54_12
; %bb.11:                               ;   in Loop: Header=BB54_8 Depth=1
	ds_write2_b32 v12, v5, v2 offset0:4 offset1:8
.LBB54_12:                              ;   in Loop: Header=BB54_8 Depth=1
	s_or_b64 exec, exec, s[20:21]
	s_waitcnt lgkmcnt(0)
	s_barrier
	ds_read2_b32 v[6:7], v9 offset0:4 offset1:5
	ds_read_b32 v24, v9 offset:24
	s_waitcnt lgkmcnt(1)
	v_cndmask_b32_e64 v22, v6, 0, s[8:9]
	v_cndmask_b32_e64 v23, 0, v7, s[10:11]
	s_waitcnt lgkmcnt(0)
	v_cndmask_b32_e64 v24, 0, v24, s[12:13]
	v_add3_u32 v5, v5, v14, v22
	v_add3_u32 v5, v5, v23, v24
	s_and_saveexec_b64 s[20:21], s[14:15]
	s_cbranch_execz .LBB54_14
; %bb.13:                               ;   in Loop: Header=BB54_8 Depth=1
	ds_read2_b32 v[6:7], v9 offset0:8 offset1:9
	ds_read_b32 v25, v9 offset:40
	s_waitcnt lgkmcnt(0)
	v_add_u32_e32 v7, v25, v7
	v_add_u32_e32 v6, v7, v6
	;; [unrolled: 1-line block ×4, first 2 shown]
	ds_write2_b32 v9, v5, v2 offset0:2 offset1:3
.LBB54_14:                              ;   in Loop: Header=BB54_8 Depth=1
	s_or_b64 exec, exec, s[20:21]
	s_waitcnt lgkmcnt(0)
	s_barrier
	ds_read2_b32 v[2:3], v9 offset0:2 offset1:3
	s_and_saveexec_b64 s[20:21], vcc
	s_cbranch_execz .LBB54_17
; %bb.15:                               ;   in Loop: Header=BB54_8 Depth=1
	v_sub_u32_e32 v5, v5, v17
	v_mul_lo_u32 v5, v5, s27
	v_lshl_add_u32 v6, v4, 2, 0
	s_and_b64 vcc, exec, s[16:17]
	ds_write_b32 v6, v5 offset:48
	s_cbranch_vccnz .LBB54_17
; %bb.16:                               ;   in Loop: Header=BB54_8 Depth=1
	v_lshl_add_u32 v5, v4, 2, s57
	ds_write_b32 v5, v4
.LBB54_17:                              ;   in Loop: Header=BB54_8 Depth=1
	s_or_b64 exec, exec, s[20:21]
	v_cmp_lt_i32_e32 vcc, 0, v17
	s_and_b64 s[34:35], s[22:23], vcc
	s_and_saveexec_b64 s[20:21], s[34:35]
	s_cbranch_execz .LBB54_27
; %bb.18:                               ;   in Loop: Header=BB54_8 Depth=1
	v_cmp_gt_u32_e64 s[34:35], 10, v17
	v_cmp_lt_u32_e32 vcc, 9, v17
	v_mov_b32_e32 v25, 0
	s_and_saveexec_b64 s[48:49], vcc
	s_cbranch_execz .LBB54_24
; %bb.19:                               ;   in Loop: Header=BB54_8 Depth=1
	v_add_u32_e32 v5, v20, v21
	v_add3_u32 v5, v5, v23, v24
	v_add3_u32 v5, v5, v22, v15
	;; [unrolled: 1-line block ×4, first 2 shown]
	v_add3_u32 v5, v17, v6, -1
	v_cmp_ge_i32_e32 vcc, v5, v6
	s_mov_b64 s[54:55], -1
	v_mov_b32_e32 v25, 0
	s_and_saveexec_b64 s[52:53], vcc
	s_cbranch_execz .LBB54_23
; %bb.20:                               ;   in Loop: Header=BB54_8 Depth=1
	v_and_b32_e32 v25, 0x7ffffffe, v17
	v_mov_b32_e32 v5, v4
	s_mov_b64 s[54:55], 0
	v_mov_b32_e32 v26, v25
.LBB54_21:                              ;   Parent Loop BB54_8 Depth=1
                                        ; =>  This Inner Loop Header: Depth=2
	v_ashrrev_i32_e32 v7, 31, v6
	v_lshlrev_b64 v[28:29], 2, v[6:7]
	v_mov_b32_e32 v7, s43
	v_add_co_u32_e32 v28, vcc, s42, v28
	v_addc_co_u32_e32 v29, vcc, v7, v29, vcc
	v_add_u32_e32 v26, -2, v26
	v_cmp_eq_u32_e32 vcc, 0, v26
	s_or_b64 s[54:55], vcc, s[54:55]
	v_add_u32_e32 v6, 2, v6
	global_store_dwordx2 v[28:29], v[4:5], off
	s_andn2_b64 exec, exec, s[54:55]
	s_cbranch_execnz .LBB54_21
; %bb.22:                               ;   in Loop: Header=BB54_8 Depth=1
	s_or_b64 exec, exec, s[54:55]
	v_cmp_ne_u32_e32 vcc, v17, v25
	s_orn2_b64 s[54:55], vcc, exec
.LBB54_23:                              ;   in Loop: Header=BB54_8 Depth=1
	s_or_b64 exec, exec, s[52:53]
	s_andn2_b64 s[34:35], s[34:35], exec
	s_and_b64 s[52:53], s[54:55], exec
	s_or_b64 s[34:35], s[34:35], s[52:53]
.LBB54_24:                              ;   in Loop: Header=BB54_8 Depth=1
	s_or_b64 exec, exec, s[48:49]
	s_and_b64 exec, exec, s[34:35]
	s_cbranch_execz .LBB54_27
; %bb.25:                               ;   in Loop: Header=BB54_8 Depth=1
	v_add3_u32 v6, v14, v20, v21
	v_add3_u32 v6, v6, v23, v24
	;; [unrolled: 1-line block ×4, first 2 shown]
	v_sub_u32_e32 v5, v17, v25
	v_add3_u32 v6, v6, v19, v25
	s_mov_b64 s[34:35], 0
.LBB54_26:                              ;   Parent Loop BB54_8 Depth=1
                                        ; =>  This Inner Loop Header: Depth=2
	v_ashrrev_i32_e32 v7, 31, v6
	v_lshlrev_b64 v[14:15], 2, v[6:7]
	v_mov_b32_e32 v7, s43
	v_add_co_u32_e32 v14, vcc, s42, v14
	v_addc_co_u32_e32 v15, vcc, v7, v15, vcc
	v_add_u32_e32 v5, -1, v5
	v_cmp_eq_u32_e32 vcc, 0, v5
	s_or_b64 s[34:35], vcc, s[34:35]
	v_add_u32_e32 v6, 1, v6
	global_store_dword v[14:15], v4, off
	s_andn2_b64 exec, exec, s[34:35]
	s_cbranch_execnz .LBB54_26
.LBB54_27:                              ;   in Loop: Header=BB54_8 Depth=1
	s_or_b64 exec, exec, s[20:21]
	s_add_i32 s31, s31, 1
	s_cmp_eq_u32 s31, s33
	s_cbranch_scc1 .LBB54_30
; %bb.28:                               ;   in Loop: Header=BB54_8 Depth=1
	s_waitcnt lgkmcnt(0)
	v_mov_b32_e32 v14, v2
	s_branch .LBB54_8
.LBB54_29:
	v_mov_b32_e32 v2, 0
.LBB54_30:
	s_load_dwordx4 s[16:19], s[4:5], 0x0
	v_cmp_eq_u32_e32 vcc, 0, v0
	s_and_saveexec_b64 s[0:1], vcc
	s_cbranch_execz .LBB54_34
; %bb.31:
	s_cmp_lg_u32 s6, 0
	s_waitcnt lgkmcnt(0)
	v_mul_lo_u32 v2, v2, s27
	s_cbranch_scc1 .LBB54_33
; %bb.32:
	v_mov_b32_e32 v4, 0
	v_mov_b32_e32 v3, s24
	global_store_dwordx2 v4, v[2:3], s[40:41]
.LBB54_33:
	v_mov_b32_e32 v3, s7
	ds_write_b32 v3, v2
.LBB54_34:
	s_or_b64 exec, exec, s[0:1]
	s_cmp_eq_u64 s[50:51], 0
	s_cselect_b64 s[0:1], -1, 0
	s_cmp_lg_u32 s6, 0
	s_cselect_b64 s[2:3], -1, 0
	s_or_b64 s[0:1], s[2:3], s[0:1]
	s_and_b64 vcc, exec, s[0:1]
	s_waitcnt lgkmcnt(0)
	s_barrier
	s_cbranch_vccnz .LBB54_39
; %bb.35:
	s_mul_i32 s4, s30, s24
	v_cmp_gt_i32_e32 vcc, s4, v0
	s_and_saveexec_b64 s[0:1], vcc
	s_cbranch_execz .LBB54_38
; %bb.36:
	v_lshlrev_b32_e32 v4, 2, v0
	v_mov_b32_e32 v3, s17
	v_add_co_u32_e32 v2, vcc, s16, v4
	v_addc_co_u32_e32 v3, vcc, 0, v3, vcc
	v_mov_b32_e32 v5, s51
	v_add_co_u32_e32 v4, vcc, s50, v4
	v_addc_co_u32_e32 v5, vcc, 0, v5, vcc
	s_mov_b64 s[2:3], 0
	v_mov_b32_e32 v6, v0
.LBB54_37:                              ; =>This Inner Loop Header: Depth=1
	global_load_dword v7, v[2:3], off
	v_add_co_u32_e32 v2, vcc, 0x400, v2
	v_add_u32_e32 v6, 0x100, v6
	v_addc_co_u32_e32 v3, vcc, 0, v3, vcc
	v_cmp_le_i32_e32 vcc, s4, v6
	s_or_b64 s[2:3], vcc, s[2:3]
	s_waitcnt vmcnt(0)
	v_max_i32_e32 v9, -1, v7
	v_cmp_gt_i32_e32 vcc, s25, v7
	v_cndmask_b32_e32 v7, -1, v9, vcc
	global_store_dword v[4:5], v7, off
	v_add_co_u32_e32 v4, vcc, 0x400, v4
	v_addc_co_u32_e32 v5, vcc, 0, v5, vcc
	s_andn2_b64 exec, exec, s[2:3]
	s_cbranch_execnz .LBB54_37
.LBB54_38:
	s_or_b64 exec, exec, s[0:1]
.LBB54_39:
	s_lshl_b32 s0, s6, 2
	s_add_i32 s0, s0, 0
	v_mov_b32_e32 v2, s0
	ds_read2_b32 v[2:3], v2 offset0:12 offset1:13
	s_waitcnt lgkmcnt(0)
	v_cmp_eq_u32_e32 vcc, v2, v3
	s_cbranch_vccnz .LBB54_60
; %bb.40:
	s_cmp_lt_i32 s26, 1
	s_cbranch_scc1 .LBB54_51
; %bb.41:
	s_add_i32 s0, s26, 0xff
	s_lshr_b32 s16, s0, 8
	s_mul_i32 s0, s26, s6
	v_mbcnt_lo_u32_b32 v4, -1, 0
	s_ashr_i32 s1, s0, 31
	v_mbcnt_hi_u32_b32 v4, -1, v4
	s_lshl_b64 s[0:1], s[0:1], 2
	v_lshlrev_b32_e32 v5, 2, v4
	s_add_u32 s17, s36, s0
	v_and_b32_e32 v5, 0xc0, v5
	s_movk_i32 s10, 0xff
	s_addc_u32 s20, s37, s1
	v_add_u32_e32 v11, -4, v5
	v_cmp_lt_u32_e32 vcc, 15, v4
	v_add_u32_e32 v12, 0xffffffbc, v5
	v_cmp_lt_u32_e64 s[0:1], 31, v4
	s_movk_i32 s6, 0x7f
	s_movk_i32 s8, 0xbf
	v_mad_u64_u32 v[4:5], s[12:13], v0, s30, -1
	v_mov_b32_e32 v10, 0
	v_cmp_eq_u32_e64 s[2:3], 63, v8
	v_lshl_add_u32 v1, v1, 2, 0
	v_cmp_gt_u32_e64 s[4:5], 64, v0
	v_cmp_lt_u32_e64 s[6:7], s6, v0
	v_cmp_lt_u32_e64 s[8:9], s8, v0
	v_cmp_eq_u32_e64 s[10:11], s10, v0
	s_lshl_b32 s21, s30, 8
	s_mov_b32 s22, 0x4020100
	v_mov_b32_e32 v7, 0
	v_mov_b32_e32 v8, v0
	;; [unrolled: 1-line block ×3, first 2 shown]
	s_branch .LBB54_43
.LBB54_42:                              ;   in Loop: Header=BB54_43 Depth=1
	s_or_b64 exec, exec, s[14:15]
	s_add_i32 s16, s16, -1
	v_add_u32_e32 v8, 0x100, v8
	s_cmp_eq_u32 s16, 0
	v_add_u32_e32 v4, s21, v4
	s_cbranch_scc1 .LBB54_52
.LBB54_43:                              ; =>This Inner Loop Header: Depth=1
	v_cmp_gt_i32_e64 s[12:13], s24, v8
	v_mov_b32_e32 v6, 0
	s_and_saveexec_b64 s[14:15], s[12:13]
	s_cbranch_execz .LBB54_45
; %bb.44:                               ;   in Loop: Header=BB54_43 Depth=1
	v_ashrrev_i32_e32 v9, 31, v8
	v_lshlrev_b64 v[14:15], 2, v[8:9]
	v_mov_b32_e32 v6, s20
	v_add_co_u32_e64 v14, s[12:13], s17, v14
	v_addc_co_u32_e64 v15, s[12:13], v6, v15, s[12:13]
	global_load_dword v6, v[14:15], off
.LBB54_45:                              ;   in Loop: Header=BB54_43 Depth=1
	s_or_b64 exec, exec, s[14:15]
	s_waitcnt vmcnt(0)
	v_add_co_u32_e64 v9, s[12:13], -1, v6
	v_cndmask_b32_e64 v13, 0, 1, s[12:13]
	s_barrier
	s_nop 0
	v_mov_b32_dpp v14, v13 row_shr:1 row_mask:0xf bank_mask:0xf bound_ctrl:1
	v_addc_co_u32_e64 v15, s[14:15], 0, v14, s[12:13]
	s_nop 1
	v_mov_b32_dpp v15, v15 row_shr:2 row_mask:0xf bank_mask:0xf bound_ctrl:1
	v_addc_co_u32_e64 v14, s[14:15], v15, v14, s[12:13]
	s_nop 1
	v_add_u32_dpp v14, v14, v14 row_shr:4 row_mask:0xf bank_mask:0xf bound_ctrl:1
	s_nop 1
	v_add_u32_dpp v14, v14, v14 row_shr:8 row_mask:0xf bank_mask:0xf bound_ctrl:1
	ds_bpermute_b32 v15, v11, v14
	s_waitcnt lgkmcnt(0)
	v_cndmask_b32_e32 v15, 0, v15, vcc
	v_add_u32_e32 v14, v14, v15
	ds_bpermute_b32 v15, v12, v14
	s_waitcnt lgkmcnt(0)
	v_cndmask_b32_e64 v15, 0, v15, s[0:1]
	v_add_u32_e32 v14, v14, v15
	s_and_saveexec_b64 s[14:15], s[2:3]
	s_cbranch_execz .LBB54_47
; %bb.46:                               ;   in Loop: Header=BB54_43 Depth=1
	ds_write_b32 v1, v14 offset:16
.LBB54_47:                              ;   in Loop: Header=BB54_43 Depth=1
	s_or_b64 exec, exec, s[14:15]
	s_waitcnt lgkmcnt(0)
	s_barrier
	ds_read2_b32 v[16:17], v10 offset0:4 offset1:5
	ds_read_b32 v15, v10 offset:24
	s_waitcnt lgkmcnt(1)
	v_cndmask_b32_e64 v16, v16, 0, s[4:5]
	v_cndmask_b32_e64 v17, 0, v17, s[6:7]
	s_waitcnt lgkmcnt(0)
	v_cndmask_b32_e64 v15, 0, v15, s[8:9]
	v_add3_u32 v5, v14, v5, v16
	v_add3_u32 v14, v5, v17, v15
	s_and_saveexec_b64 s[14:15], s[10:11]
	s_cbranch_execz .LBB54_49
; %bb.48:                               ;   in Loop: Header=BB54_43 Depth=1
	ds_write_b32 v10, v14
.LBB54_49:                              ;   in Loop: Header=BB54_43 Depth=1
	s_or_b64 exec, exec, s[14:15]
	s_waitcnt lgkmcnt(0)
	s_barrier
	ds_read_b32 v5, v10
	s_and_saveexec_b64 s[14:15], s[12:13]
	s_cbranch_execz .LBB54_42
; %bb.50:                               ;   in Loop: Header=BB54_43 Depth=1
	v_add_u32_e32 v6, v6, v4
	v_lshlrev_b64 v[16:17], 2, v[6:7]
	v_mov_b32_e32 v6, s19
	v_add_co_u32_e64 v16, s[12:13], s18, v16
	v_addc_co_u32_e64 v17, s[12:13], v6, v17, s[12:13]
	global_load_dword v6, v[16:17], off
	v_sub_u32_e32 v13, v2, v13
	v_add_u32_e32 v14, v13, v14
	v_ashrrev_i32_e32 v15, 31, v14
	v_lshlrev_b64 v[14:15], 2, v[14:15]
	v_mov_b32_e32 v13, s45
	v_add_co_u32_e64 v16, s[12:13], s44, v14
	v_perm_b32 v9, v9, v8, s22
	v_addc_co_u32_e64 v17, s[12:13], v13, v15, s[12:13]
	global_store_dword v[16:17], v9, off
	v_mov_b32_e32 v9, s47
	v_add_co_u32_e64 v14, s[12:13], s46, v14
	v_addc_co_u32_e64 v15, s[12:13], v9, v15, s[12:13]
	s_waitcnt vmcnt(1)
	global_store_dword v[14:15], v6, off
	s_branch .LBB54_42
.LBB54_51:
	v_mov_b32_e32 v5, 0
.LBB54_52:
	s_waitcnt lgkmcnt(0)
	v_add_u32_e32 v1, v5, v2
	v_add_u32_e32 v4, v1, v0
	v_cmp_lt_i32_e32 vcc, v4, v3
	s_and_saveexec_b64 s[0:1], vcc
	s_cbranch_execz .LBB54_60
; %bb.53:
	v_add_u32_e32 v5, 0x100, v4
	v_max_i32_e32 v2, v3, v5
	s_and_b32 s0, s24, 0xffffff
	s_lshl_b32 s1, s30, 24
	v_xad_u32 v0, v0, -1, v2
	s_or_b32 s6, s1, s0
	v_sub_u32_e32 v0, v0, v1
	s_movk_i32 s0, 0xff
	v_cmp_lt_u32_e32 vcc, s0, v0
	s_mov_b64 s[0:1], -1
	s_and_saveexec_b64 s[2:3], vcc
	s_cbranch_execz .LBB54_57
; %bb.54:
	v_lshrrev_b32_e32 v0, 8, v0
	v_add_u32_e32 v2, 1, v0
	v_and_b32_e32 v6, 0x1fffffe, v2
	s_mov_b64 s[4:5], 0
	v_mov_b32_e32 v7, s45
	v_mov_b32_e32 v8, s6
	;; [unrolled: 1-line block ×5, first 2 shown]
	v_pk_mov_b32 v[0:1], v[4:5], v[4:5] op_sel:[0,1]
.LBB54_55:                              ; =>This Inner Loop Header: Depth=1
	v_ashrrev_i32_e32 v15, 31, v0
	v_mov_b32_e32 v14, v0
	v_lshlrev_b64 v[14:15], 2, v[14:15]
	v_ashrrev_i32_e32 v13, 31, v1
	v_mov_b32_e32 v12, v1
	v_add_co_u32_e64 v16, s[0:1], s44, v14
	v_lshlrev_b64 v[12:13], 2, v[12:13]
	v_addc_co_u32_e64 v17, s[0:1], v7, v15, s[0:1]
	v_add_co_u32_e64 v18, s[0:1], s44, v12
	v_addc_co_u32_e64 v19, s[0:1], v7, v13, s[0:1]
	v_add_u32_e32 v11, -2, v11
	v_add_co_u32_e64 v14, s[0:1], s46, v14
	v_cmp_eq_u32_e32 vcc, 0, v11
	v_addc_co_u32_e64 v15, s[0:1], v9, v15, s[0:1]
	v_add_u32_e32 v1, 0x200, v1
	v_add_u32_e32 v0, 0x200, v0
	v_add_co_u32_e64 v12, s[0:1], s46, v12
	s_or_b64 s[4:5], vcc, s[4:5]
	v_addc_co_u32_e64 v13, s[0:1], v9, v13, s[0:1]
	global_store_dword v[16:17], v8, off
	global_store_dword v[18:19], v8, off
	;; [unrolled: 1-line block ×4, first 2 shown]
	s_andn2_b64 exec, exec, s[4:5]
	s_cbranch_execnz .LBB54_55
; %bb.56:
	s_or_b64 exec, exec, s[4:5]
	v_cmp_ne_u32_e32 vcc, v2, v6
	v_lshl_add_u32 v4, v6, 8, v4
	s_orn2_b64 s[0:1], vcc, exec
.LBB54_57:
	s_or_b64 exec, exec, s[2:3]
	s_and_b64 exec, exec, s[0:1]
	s_cbranch_execz .LBB54_60
; %bb.58:
	v_ashrrev_i32_e32 v5, 31, v4
	v_lshlrev_b64 v[6:7], 2, v[4:5]
	v_mov_b32_e32 v1, s45
	v_add_co_u32_e32 v0, vcc, s44, v6
	v_addc_co_u32_e32 v1, vcc, v1, v7, vcc
	v_mov_b32_e32 v2, s47
	v_add_co_u32_e32 v6, vcc, s46, v6
	v_addc_co_u32_e32 v7, vcc, v2, v7, vcc
	s_mov_b64 s[2:3], 0
	v_mov_b32_e32 v2, s6
	v_mov_b32_e32 v5, 0
.LBB54_59:                              ; =>This Inner Loop Header: Depth=1
	global_store_dword v[0:1], v2, off
	global_store_dword v[6:7], v5, off
	v_add_co_u32_e32 v0, vcc, 0x400, v0
	v_add_u32_e32 v4, 0x100, v4
	v_addc_co_u32_e32 v1, vcc, 0, v1, vcc
	v_add_co_u32_e32 v6, vcc, 0x400, v6
	v_cmp_ge_i32_e64 s[0:1], v4, v3
	s_or_b64 s[2:3], s[0:1], s[2:3]
	v_addc_co_u32_e32 v7, vcc, 0, v7, vcc
	s_andn2_b64 exec, exec, s[2:3]
	s_cbranch_execnz .LBB54_59
.LBB54_60:
	s_endpgm
	.section	.rodata,"a",@progbits
	.p2align	6, 0x0
	.amdhsa_kernel _ZN5aiter22opus_moe_sorting_entryINS_30MoeSortingMultiPhaseKernel_P23INS_19MoeSortingProblemMpIifiLi1ELb0ELb0ELb1EEEEENS4_5KargsEEEvT0_
		.amdhsa_group_segment_fixed_size 0
		.amdhsa_private_segment_fixed_size 0
		.amdhsa_kernarg_size 400
		.amdhsa_user_sgpr_count 6
		.amdhsa_user_sgpr_private_segment_buffer 1
		.amdhsa_user_sgpr_dispatch_ptr 0
		.amdhsa_user_sgpr_queue_ptr 0
		.amdhsa_user_sgpr_kernarg_segment_ptr 1
		.amdhsa_user_sgpr_dispatch_id 0
		.amdhsa_user_sgpr_flat_scratch_init 0
		.amdhsa_user_sgpr_kernarg_preload_length 0
		.amdhsa_user_sgpr_kernarg_preload_offset 0
		.amdhsa_user_sgpr_private_segment_size 0
		.amdhsa_uses_dynamic_stack 0
		.amdhsa_system_sgpr_private_segment_wavefront_offset 0
		.amdhsa_system_sgpr_workgroup_id_x 1
		.amdhsa_system_sgpr_workgroup_id_y 0
		.amdhsa_system_sgpr_workgroup_id_z 0
		.amdhsa_system_sgpr_workgroup_info 0
		.amdhsa_system_vgpr_workitem_id 0
		.amdhsa_next_free_vgpr 30
		.amdhsa_next_free_sgpr 58
		.amdhsa_accum_offset 32
		.amdhsa_reserve_vcc 1
		.amdhsa_reserve_flat_scratch 0
		.amdhsa_float_round_mode_32 0
		.amdhsa_float_round_mode_16_64 0
		.amdhsa_float_denorm_mode_32 3
		.amdhsa_float_denorm_mode_16_64 3
		.amdhsa_dx10_clamp 1
		.amdhsa_ieee_mode 1
		.amdhsa_fp16_overflow 0
		.amdhsa_tg_split 0
		.amdhsa_exception_fp_ieee_invalid_op 0
		.amdhsa_exception_fp_denorm_src 0
		.amdhsa_exception_fp_ieee_div_zero 0
		.amdhsa_exception_fp_ieee_overflow 0
		.amdhsa_exception_fp_ieee_underflow 0
		.amdhsa_exception_fp_ieee_inexact 0
		.amdhsa_exception_int_div_zero 0
	.end_amdhsa_kernel
	.section	.text._ZN5aiter22opus_moe_sorting_entryINS_30MoeSortingMultiPhaseKernel_P23INS_19MoeSortingProblemMpIifiLi1ELb0ELb0ELb1EEEEENS4_5KargsEEEvT0_,"axG",@progbits,_ZN5aiter22opus_moe_sorting_entryINS_30MoeSortingMultiPhaseKernel_P23INS_19MoeSortingProblemMpIifiLi1ELb0ELb0ELb1EEEEENS4_5KargsEEEvT0_,comdat
.Lfunc_end54:
	.size	_ZN5aiter22opus_moe_sorting_entryINS_30MoeSortingMultiPhaseKernel_P23INS_19MoeSortingProblemMpIifiLi1ELb0ELb0ELb1EEEEENS4_5KargsEEEvT0_, .Lfunc_end54-_ZN5aiter22opus_moe_sorting_entryINS_30MoeSortingMultiPhaseKernel_P23INS_19MoeSortingProblemMpIifiLi1ELb0ELb0ELb1EEEEENS4_5KargsEEEvT0_
                                        ; -- End function
	.section	.AMDGPU.csdata,"",@progbits
; Kernel info:
; codeLenInByte = 2768
; NumSgprs: 62
; NumVgprs: 30
; NumAgprs: 0
; TotalNumVgprs: 30
; ScratchSize: 0
; MemoryBound: 0
; FloatMode: 240
; IeeeMode: 1
; LDSByteSize: 0 bytes/workgroup (compile time only)
; SGPRBlocks: 7
; VGPRBlocks: 3
; NumSGPRsForWavesPerEU: 62
; NumVGPRsForWavesPerEU: 30
; AccumOffset: 32
; Occupancy: 8
; WaveLimiterHint : 0
; COMPUTE_PGM_RSRC2:SCRATCH_EN: 0
; COMPUTE_PGM_RSRC2:USER_SGPR: 6
; COMPUTE_PGM_RSRC2:TRAP_HANDLER: 0
; COMPUTE_PGM_RSRC2:TGID_X_EN: 1
; COMPUTE_PGM_RSRC2:TGID_Y_EN: 0
; COMPUTE_PGM_RSRC2:TGID_Z_EN: 0
; COMPUTE_PGM_RSRC2:TIDIG_COMP_CNT: 0
; COMPUTE_PGM_RSRC3_GFX90A:ACCUM_OFFSET: 7
; COMPUTE_PGM_RSRC3_GFX90A:TG_SPLIT: 0
	.section	.text._ZN5aiter22opus_moe_sorting_entryINS_32MoeSortingMultiPhaseKernel_P0_v1INS_19MoeSortingProblemMpIifhLi4ELb1ELb1ELb1EEEEENS4_5KargsEEEvT0_,"axG",@progbits,_ZN5aiter22opus_moe_sorting_entryINS_32MoeSortingMultiPhaseKernel_P0_v1INS_19MoeSortingProblemMpIifhLi4ELb1ELb1ELb1EEEEENS4_5KargsEEEvT0_,comdat
	.protected	_ZN5aiter22opus_moe_sorting_entryINS_32MoeSortingMultiPhaseKernel_P0_v1INS_19MoeSortingProblemMpIifhLi4ELb1ELb1ELb1EEEEENS4_5KargsEEEvT0_ ; -- Begin function _ZN5aiter22opus_moe_sorting_entryINS_32MoeSortingMultiPhaseKernel_P0_v1INS_19MoeSortingProblemMpIifhLi4ELb1ELb1ELb1EEEEENS4_5KargsEEEvT0_
	.globl	_ZN5aiter22opus_moe_sorting_entryINS_32MoeSortingMultiPhaseKernel_P0_v1INS_19MoeSortingProblemMpIifhLi4ELb1ELb1ELb1EEEEENS4_5KargsEEEvT0_
	.p2align	8
	.type	_ZN5aiter22opus_moe_sorting_entryINS_32MoeSortingMultiPhaseKernel_P0_v1INS_19MoeSortingProblemMpIifhLi4ELb1ELb1ELb1EEEEENS4_5KargsEEEvT0_,@function
_ZN5aiter22opus_moe_sorting_entryINS_32MoeSortingMultiPhaseKernel_P0_v1INS_19MoeSortingProblemMpIifhLi4ELb1ELb1ELb1EEEEENS4_5KargsEEEvT0_: ; @_ZN5aiter22opus_moe_sorting_entryINS_32MoeSortingMultiPhaseKernel_P0_v1INS_19MoeSortingProblemMpIifhLi4ELb1ELb1ELb1EEEEENS4_5KargsEEEvT0_
; %bb.0:
	s_load_dwordx4 s[8:11], s[4:5], 0x0
	s_load_dword s1, s[4:5], 0x24
	s_lshl_b32 s0, s6, 8
	v_add_u32_e32 v4, s0, v0
	s_waitcnt lgkmcnt(0)
	s_load_dword s16, s[10:11], 0x0
	s_waitcnt lgkmcnt(0)
	s_add_i32 s2, s16, 3
	s_ashr_i32 s3, s2, 31
	s_lshr_b32 s3, s3, 30
	s_add_i32 s2, s2, s3
	s_lshr_b32 s2, s2, 2
	s_mul_i32 s17, s1, s2
	s_andn2_b32 s17, s17, -2.0
	v_cmp_gt_i32_e32 vcc, s17, v4
	s_and_saveexec_b64 s[2:3], vcc
	s_cbranch_execz .LBB55_41
; %bb.1:
	s_load_dwordx2 s[2:3], s[4:5], 0x10
	s_load_dword s18, s[4:5], 0x1c
	s_load_dwordx2 s[10:11], s[4:5], 0x28
	s_load_dword s13, s[4:5], 0x30
	s_add_i32 s7, s16, 31
	s_ashr_i32 s12, s7, 31
	s_lshr_b32 s4, s12, 27
	s_sub_i32 s22, 0, s1
	s_waitcnt lgkmcnt(0)
	s_mul_i32 s23, s13, 0xc00
	s_lshl_b32 s1, s6, 10
	s_add_i32 s19, s7, s4
	s_add_i32 s4, s23, s1
	v_lshlrev_b32_e32 v1, 2, v0
	s_mul_i32 s26, s13, 0x300
	s_lshl_b32 s31, s13, 9
	s_lshl_b32 s21, s13, 8
	v_add_u32_e32 v9, s4, v1
	v_add_u32_e32 v10, s1, v1
	s_add_i32 s4, s0, s26
	s_lshl_b32 s29, s13, 11
	s_add_i32 s0, s0, s31
	s_lshl_b32 s35, s13, 10
	v_add_lshl_u32 v11, s4, v0, 2
	s_add_i32 s4, s29, s1
	v_add_lshl_u32 v16, s0, v0, 2
	s_add_i32 s1, s1, s35
	v_add_lshl_u32 v21, v4, s21, 2
	v_or_b32_e32 v25, 3, v10
	v_or_b32_e32 v26, 2, v10
	;; [unrolled: 1-line block ×3, first 2 shown]
	s_andn2_b32 s19, s19, 31
	s_mov_b32 s20, 0
	s_lshl_b32 s24, s13, 12
	s_or_b32 s25, s23, 3
	v_or_b32_e32 v12, 3, v11
	s_or_b32 s27, s23, 2
	v_or_b32_e32 v13, 2, v11
	;; [unrolled: 2-line block ×3, first 2 shown]
	v_add_u32_e32 v15, s4, v1
	s_or_b32 s30, s29, 3
	v_or_b32_e32 v17, 3, v16
	s_or_b32 s33, s29, 2
	v_or_b32_e32 v18, 2, v16
	s_or_b32 s34, s29, 1
	v_or_b32_e32 v19, 1, v16
	v_add_u32_e32 v20, s1, v1
	s_or_b32 s36, s35, 3
	v_or_b32_e32 v22, 3, v21
	s_or_b32 s37, s35, 2
	v_or_b32_e32 v23, 2, v21
	;; [unrolled: 2-line block ×3, first 2 shown]
	s_mov_b64 s[4:5], 0
	v_mov_b32_e32 v28, s9
	v_mov_b32_e32 v29, v10
	v_mov_b32_e32 v30, v27
	v_mov_b32_e32 v31, v26
	v_mov_b32_e32 v32, v25
	s_branch .LBB55_6
.LBB55_2:                               ;   in Loop: Header=BB55_6 Depth=1
	s_or_b64 exec, exec, s[0:1]
	s_add_i32 s0, s21, s21
	s_add_i32 s0, s0, s21
	v_add_u32_e32 v4, s0, v6
	v_cmp_le_i32_e32 vcc, s17, v4
	s_add_i32 s20, s20, s24
	v_add_u32_e32 v12, s24, v12
	v_add_u32_e32 v13, s24, v13
	;; [unrolled: 1-line block ×16, first 2 shown]
	s_orn2_b64 s[0:1], vcc, exec
.LBB55_3:                               ;   in Loop: Header=BB55_6 Depth=1
	s_or_b64 exec, exec, s[14:15]
	s_orn2_b64 s[0:1], s[0:1], exec
.LBB55_4:                               ;   in Loop: Header=BB55_6 Depth=1
	s_or_b64 exec, exec, s[12:13]
	s_orn2_b64 s[0:1], s[0:1], exec
.LBB55_5:                               ;   in Loop: Header=BB55_6 Depth=1
	s_or_b64 exec, exec, s[6:7]
	s_and_b64 s[0:1], exec, s[0:1]
	s_or_b64 s[4:5], s[0:1], s[4:5]
	s_andn2_b64 exec, exec, s[4:5]
	s_cbranch_execz .LBB55_41
.LBB55_6:                               ; =>This Inner Loop Header: Depth=1
	v_ashrrev_i32_e32 v5, 31, v4
	v_lshlrev_b64 v[0:1], 4, v[4:5]
	v_add_co_u32_e32 v0, vcc, s8, v0
	v_addc_co_u32_e32 v1, vcc, v28, v1, vcc
	global_load_dwordx4 v[0:3], v[0:1], off
	v_mul_hi_u32 v5, s10, v29
	v_add3_u32 v5, v10, v5, s20
	v_lshrrev_b32_e32 v6, s11, v5
	v_cmp_gt_i32_e64 s[0:1], s16, v6
	s_waitcnt vmcnt(0)
	v_cmp_gt_i32_e32 vcc, s18, v0
	s_and_b64 s[6:7], vcc, s[0:1]
	s_and_saveexec_b64 s[0:1], s[6:7]
	s_cbranch_execz .LBB55_8
; %bb.7:                                ;   in Loop: Header=BB55_6 Depth=1
	v_mul_lo_u32 v5, s22, v6
	v_add3_u32 v5, v10, s20, v5
	v_add_u16_e32 v5, 1, v5
	v_mad_u64_u32 v[6:7], s[6:7], v0, s19, v[6:7]
	global_store_byte v6, v5, s[2:3]
.LBB55_8:                               ;   in Loop: Header=BB55_6 Depth=1
	s_or_b64 exec, exec, s[0:1]
	v_mul_hi_u32 v0, s10, v30
	v_add3_u32 v0, v27, v0, s20
	v_lshrrev_b32_e32 v0, s11, v0
	v_cmp_gt_i32_e32 vcc, s18, v1
	v_cmp_gt_i32_e64 s[0:1], s16, v0
	s_and_b64 s[6:7], vcc, s[0:1]
	s_and_saveexec_b64 s[0:1], s[6:7]
	s_cbranch_execz .LBB55_10
; %bb.9:                                ;   in Loop: Header=BB55_6 Depth=1
	v_mul_lo_u32 v5, s22, v0
	v_add3_u32 v5, v10, s20, v5
	v_add_u16_e32 v5, 2, v5
	v_mad_u64_u32 v[0:1], s[6:7], v1, s19, v[0:1]
	global_store_byte v0, v5, s[2:3]
.LBB55_10:                              ;   in Loop: Header=BB55_6 Depth=1
	s_or_b64 exec, exec, s[0:1]
	v_mul_hi_u32 v0, s10, v31
	v_add3_u32 v0, v26, v0, s20
	v_lshrrev_b32_e32 v0, s11, v0
	v_cmp_gt_i32_e32 vcc, s18, v2
	v_cmp_gt_i32_e64 s[0:1], s16, v0
	s_and_b64 s[6:7], vcc, s[0:1]
	s_and_saveexec_b64 s[0:1], s[6:7]
	s_cbranch_execz .LBB55_12
; %bb.11:                               ;   in Loop: Header=BB55_6 Depth=1
	v_mul_lo_u32 v1, s22, v0
	v_add3_u32 v1, v10, s20, v1
	v_add_u16_e32 v5, 3, v1
	v_mad_u64_u32 v[0:1], s[6:7], v2, s19, v[0:1]
	global_store_byte v0, v5, s[2:3]
.LBB55_12:                              ;   in Loop: Header=BB55_6 Depth=1
	s_or_b64 exec, exec, s[0:1]
	v_mul_hi_u32 v0, s10, v32
	v_add3_u32 v0, v25, v0, s20
	v_lshrrev_b32_e32 v0, s11, v0
	v_cmp_gt_i32_e32 vcc, s18, v3
	v_cmp_gt_i32_e64 s[0:1], s16, v0
	s_and_b64 s[6:7], vcc, s[0:1]
	s_and_saveexec_b64 s[0:1], s[6:7]
	s_cbranch_execz .LBB55_14
; %bb.13:                               ;   in Loop: Header=BB55_6 Depth=1
	v_mul_lo_u32 v1, s22, v0
	v_add3_u32 v1, v10, s20, v1
	v_add_u16_e32 v2, 4, v1
	v_mad_u64_u32 v[0:1], s[6:7], v3, s19, v[0:1]
	global_store_byte v0, v2, s[2:3]
.LBB55_14:                              ;   in Loop: Header=BB55_6 Depth=1
	s_or_b64 exec, exec, s[0:1]
	v_add_u32_e32 v6, s21, v4
	v_cmp_gt_i32_e32 vcc, s17, v6
	s_mov_b64 s[0:1], -1
	s_and_saveexec_b64 s[6:7], vcc
	s_cbranch_execz .LBB55_5
; %bb.15:                               ;   in Loop: Header=BB55_6 Depth=1
	v_ashrrev_i32_e32 v7, 31, v6
	v_lshlrev_b64 v[0:1], 4, v[6:7]
	v_mov_b32_e32 v2, s9
	v_add_co_u32_e32 v0, vcc, s8, v0
	v_addc_co_u32_e32 v1, vcc, v2, v1, vcc
	global_load_dwordx4 v[0:3], v[0:1], off
	v_mul_hi_u32 v7, s10, v21
	v_add_u32_e32 v5, s20, v10
	v_add3_u32 v7, s35, v7, v5
	v_lshrrev_b32_e32 v8, s11, v7
	v_cmp_gt_i32_e64 s[0:1], s16, v8
	s_waitcnt vmcnt(0)
	v_cmp_gt_i32_e32 vcc, s18, v0
	s_and_b64 s[12:13], vcc, s[0:1]
	s_and_saveexec_b64 s[0:1], s[12:13]
	s_cbranch_execz .LBB55_17
; %bb.16:                               ;   in Loop: Header=BB55_6 Depth=1
	v_mul_lo_u32 v7, s22, v8
	v_add3_u32 v7, v20, s20, v7
	v_add_u16_e32 v7, 1, v7
	v_mad_u64_u32 v[34:35], s[12:13], v0, s19, v[8:9]
	global_store_byte v34, v7, s[2:3]
.LBB55_17:                              ;   in Loop: Header=BB55_6 Depth=1
	s_or_b64 exec, exec, s[0:1]
	v_mul_hi_u32 v0, s10, v24
	v_add3_u32 v0, s38, v0, v5
	v_lshrrev_b32_e32 v0, s11, v0
	v_cmp_gt_i32_e32 vcc, s18, v1
	v_cmp_gt_i32_e64 s[0:1], s16, v0
	s_and_b64 s[12:13], vcc, s[0:1]
	s_and_saveexec_b64 s[0:1], s[12:13]
	s_cbranch_execz .LBB55_19
; %bb.18:                               ;   in Loop: Header=BB55_6 Depth=1
	v_mul_lo_u32 v7, s22, v0
	v_add3_u32 v7, v20, s20, v7
	v_add_u16_e32 v7, 2, v7
	v_mad_u64_u32 v[0:1], s[12:13], v1, s19, v[0:1]
	global_store_byte v0, v7, s[2:3]
.LBB55_19:                              ;   in Loop: Header=BB55_6 Depth=1
	s_or_b64 exec, exec, s[0:1]
	v_mul_hi_u32 v0, s10, v23
	v_add3_u32 v0, s37, v0, v5
	v_lshrrev_b32_e32 v0, s11, v0
	v_cmp_gt_i32_e32 vcc, s18, v2
	v_cmp_gt_i32_e64 s[0:1], s16, v0
	s_and_b64 s[12:13], vcc, s[0:1]
	s_and_saveexec_b64 s[0:1], s[12:13]
	s_cbranch_execz .LBB55_21
; %bb.20:                               ;   in Loop: Header=BB55_6 Depth=1
	v_mul_lo_u32 v1, s22, v0
	v_add3_u32 v1, v20, s20, v1
	v_add_u16_e32 v7, 3, v1
	v_mad_u64_u32 v[0:1], s[12:13], v2, s19, v[0:1]
	global_store_byte v0, v7, s[2:3]
.LBB55_21:                              ;   in Loop: Header=BB55_6 Depth=1
	s_or_b64 exec, exec, s[0:1]
	v_mul_hi_u32 v0, s10, v22
	v_add3_u32 v0, s36, v0, v5
	v_lshrrev_b32_e32 v0, s11, v0
	v_cmp_gt_i32_e32 vcc, s18, v3
	v_cmp_gt_i32_e64 s[0:1], s16, v0
	s_and_b64 s[12:13], vcc, s[0:1]
	s_and_saveexec_b64 s[0:1], s[12:13]
	s_cbranch_execz .LBB55_23
; %bb.22:                               ;   in Loop: Header=BB55_6 Depth=1
	v_mul_lo_u32 v1, s22, v0
	v_add3_u32 v1, v20, s20, v1
	v_add_u16_e32 v2, 4, v1
	v_mad_u64_u32 v[0:1], s[12:13], v3, s19, v[0:1]
	global_store_byte v0, v2, s[2:3]
.LBB55_23:                              ;   in Loop: Header=BB55_6 Depth=1
	s_or_b64 exec, exec, s[0:1]
	v_add_u32_e32 v0, s31, v4
	v_cmp_gt_i32_e32 vcc, s17, v0
	s_mov_b64 s[0:1], -1
	s_and_saveexec_b64 s[12:13], vcc
	s_cbranch_execz .LBB55_4
; %bb.24:                               ;   in Loop: Header=BB55_6 Depth=1
	v_ashrrev_i32_e32 v1, 31, v0
	v_lshlrev_b64 v[0:1], 4, v[0:1]
	v_mov_b32_e32 v2, s9
	v_add_co_u32_e32 v0, vcc, s8, v0
	v_addc_co_u32_e32 v1, vcc, v2, v1, vcc
	global_load_dwordx4 v[0:3], v[0:1], off
	v_mul_hi_u32 v7, s10, v16
	v_add3_u32 v7, s29, v7, v5
	v_lshrrev_b32_e32 v8, s11, v7
	v_cmp_gt_i32_e64 s[0:1], s16, v8
	s_waitcnt vmcnt(0)
	v_cmp_gt_i32_e32 vcc, s18, v0
	s_and_b64 s[14:15], vcc, s[0:1]
	s_and_saveexec_b64 s[0:1], s[14:15]
	s_cbranch_execz .LBB55_26
; %bb.25:                               ;   in Loop: Header=BB55_6 Depth=1
	v_mul_lo_u32 v7, s22, v8
	v_add3_u32 v7, v15, s20, v7
	v_add_u16_e32 v7, 1, v7
	v_mad_u64_u32 v[34:35], s[14:15], v0, s19, v[8:9]
	global_store_byte v34, v7, s[2:3]
.LBB55_26:                              ;   in Loop: Header=BB55_6 Depth=1
	s_or_b64 exec, exec, s[0:1]
	v_mul_hi_u32 v0, s10, v19
	v_add3_u32 v0, s34, v0, v5
	v_lshrrev_b32_e32 v0, s11, v0
	v_cmp_gt_i32_e32 vcc, s18, v1
	v_cmp_gt_i32_e64 s[0:1], s16, v0
	s_and_b64 s[14:15], vcc, s[0:1]
	s_and_saveexec_b64 s[0:1], s[14:15]
	s_cbranch_execz .LBB55_28
; %bb.27:                               ;   in Loop: Header=BB55_6 Depth=1
	v_mul_lo_u32 v7, s22, v0
	v_add3_u32 v7, v15, s20, v7
	v_add_u16_e32 v7, 2, v7
	v_mad_u64_u32 v[0:1], s[14:15], v1, s19, v[0:1]
	global_store_byte v0, v7, s[2:3]
.LBB55_28:                              ;   in Loop: Header=BB55_6 Depth=1
	s_or_b64 exec, exec, s[0:1]
	v_mul_hi_u32 v0, s10, v18
	v_add3_u32 v0, s33, v0, v5
	v_lshrrev_b32_e32 v0, s11, v0
	v_cmp_gt_i32_e32 vcc, s18, v2
	v_cmp_gt_i32_e64 s[0:1], s16, v0
	;; [unrolled: 16-line block ×3, first 2 shown]
	s_and_b64 s[14:15], vcc, s[0:1]
	s_and_saveexec_b64 s[0:1], s[14:15]
	s_cbranch_execz .LBB55_32
; %bb.31:                               ;   in Loop: Header=BB55_6 Depth=1
	v_mul_lo_u32 v1, s22, v0
	v_add3_u32 v1, v15, s20, v1
	v_add_u16_e32 v2, 4, v1
	v_mad_u64_u32 v[0:1], s[14:15], v3, s19, v[0:1]
	global_store_byte v0, v2, s[2:3]
.LBB55_32:                              ;   in Loop: Header=BB55_6 Depth=1
	s_or_b64 exec, exec, s[0:1]
	v_add_u32_e32 v0, s26, v4
	v_cmp_gt_i32_e32 vcc, s17, v0
	s_mov_b64 s[0:1], -1
                                        ; implicit-def: $vgpr4
	s_and_saveexec_b64 s[14:15], vcc
	s_cbranch_execz .LBB55_3
; %bb.33:                               ;   in Loop: Header=BB55_6 Depth=1
	v_ashrrev_i32_e32 v1, 31, v0
	v_lshlrev_b64 v[0:1], 4, v[0:1]
	v_mov_b32_e32 v2, s9
	v_add_co_u32_e32 v0, vcc, s8, v0
	v_addc_co_u32_e32 v1, vcc, v2, v1, vcc
	global_load_dwordx4 v[0:3], v[0:1], off
	v_mul_hi_u32 v4, s10, v11
	v_add3_u32 v4, s23, v4, v5
	v_lshrrev_b32_e32 v4, s11, v4
	v_cmp_gt_i32_e64 s[0:1], s16, v4
	s_waitcnt vmcnt(0)
	v_cmp_gt_i32_e32 vcc, s18, v0
	s_and_b64 s[40:41], vcc, s[0:1]
	s_and_saveexec_b64 s[0:1], s[40:41]
	s_cbranch_execz .LBB55_35
; %bb.34:                               ;   in Loop: Header=BB55_6 Depth=1
	v_mul_lo_u32 v7, s22, v4
	v_add3_u32 v7, v9, s20, v7
	v_add_u16_e32 v7, 1, v7
	v_mad_u64_u32 v[34:35], s[40:41], v0, s19, v[4:5]
	global_store_byte v34, v7, s[2:3]
.LBB55_35:                              ;   in Loop: Header=BB55_6 Depth=1
	s_or_b64 exec, exec, s[0:1]
	v_mul_hi_u32 v0, s10, v14
	v_add3_u32 v0, s28, v0, v5
	v_lshrrev_b32_e32 v0, s11, v0
	v_cmp_gt_i32_e32 vcc, s18, v1
	v_cmp_gt_i32_e64 s[0:1], s16, v0
	s_and_b64 s[40:41], vcc, s[0:1]
	s_and_saveexec_b64 s[0:1], s[40:41]
	s_cbranch_execz .LBB55_37
; %bb.36:                               ;   in Loop: Header=BB55_6 Depth=1
	v_mul_lo_u32 v4, s22, v0
	v_add3_u32 v4, v9, s20, v4
	v_add_u16_e32 v4, 2, v4
	v_mad_u64_u32 v[0:1], s[40:41], v1, s19, v[0:1]
	global_store_byte v0, v4, s[2:3]
.LBB55_37:                              ;   in Loop: Header=BB55_6 Depth=1
	s_or_b64 exec, exec, s[0:1]
	v_mul_hi_u32 v0, s10, v13
	v_add3_u32 v0, s27, v0, v5
	v_lshrrev_b32_e32 v0, s11, v0
	v_cmp_gt_i32_e32 vcc, s18, v2
	v_cmp_gt_i32_e64 s[0:1], s16, v0
	;; [unrolled: 16-line block ×3, first 2 shown]
	s_and_b64 s[40:41], vcc, s[0:1]
	s_and_saveexec_b64 s[0:1], s[40:41]
	s_cbranch_execz .LBB55_2
; %bb.40:                               ;   in Loop: Header=BB55_6 Depth=1
	v_mul_lo_u32 v1, s22, v0
	v_add3_u32 v1, v9, s20, v1
	v_add_u16_e32 v2, 4, v1
	v_mad_u64_u32 v[0:1], s[40:41], v3, s19, v[0:1]
	global_store_byte v0, v2, s[2:3]
	s_branch .LBB55_2
.LBB55_41:
	s_endpgm
	.section	.rodata,"a",@progbits
	.p2align	6, 0x0
	.amdhsa_kernel _ZN5aiter22opus_moe_sorting_entryINS_32MoeSortingMultiPhaseKernel_P0_v1INS_19MoeSortingProblemMpIifhLi4ELb1ELb1ELb1EEEEENS4_5KargsEEEvT0_
		.amdhsa_group_segment_fixed_size 0
		.amdhsa_private_segment_fixed_size 0
		.amdhsa_kernarg_size 304
		.amdhsa_user_sgpr_count 6
		.amdhsa_user_sgpr_private_segment_buffer 1
		.amdhsa_user_sgpr_dispatch_ptr 0
		.amdhsa_user_sgpr_queue_ptr 0
		.amdhsa_user_sgpr_kernarg_segment_ptr 1
		.amdhsa_user_sgpr_dispatch_id 0
		.amdhsa_user_sgpr_flat_scratch_init 0
		.amdhsa_user_sgpr_kernarg_preload_length 0
		.amdhsa_user_sgpr_kernarg_preload_offset 0
		.amdhsa_user_sgpr_private_segment_size 0
		.amdhsa_uses_dynamic_stack 0
		.amdhsa_system_sgpr_private_segment_wavefront_offset 0
		.amdhsa_system_sgpr_workgroup_id_x 1
		.amdhsa_system_sgpr_workgroup_id_y 0
		.amdhsa_system_sgpr_workgroup_id_z 0
		.amdhsa_system_sgpr_workgroup_info 0
		.amdhsa_system_vgpr_workitem_id 0
		.amdhsa_next_free_vgpr 36
		.amdhsa_next_free_sgpr 42
		.amdhsa_accum_offset 36
		.amdhsa_reserve_vcc 1
		.amdhsa_reserve_flat_scratch 0
		.amdhsa_float_round_mode_32 0
		.amdhsa_float_round_mode_16_64 0
		.amdhsa_float_denorm_mode_32 3
		.amdhsa_float_denorm_mode_16_64 3
		.amdhsa_dx10_clamp 1
		.amdhsa_ieee_mode 1
		.amdhsa_fp16_overflow 0
		.amdhsa_tg_split 0
		.amdhsa_exception_fp_ieee_invalid_op 0
		.amdhsa_exception_fp_denorm_src 0
		.amdhsa_exception_fp_ieee_div_zero 0
		.amdhsa_exception_fp_ieee_overflow 0
		.amdhsa_exception_fp_ieee_underflow 0
		.amdhsa_exception_fp_ieee_inexact 0
		.amdhsa_exception_int_div_zero 0
	.end_amdhsa_kernel
	.section	.text._ZN5aiter22opus_moe_sorting_entryINS_32MoeSortingMultiPhaseKernel_P0_v1INS_19MoeSortingProblemMpIifhLi4ELb1ELb1ELb1EEEEENS4_5KargsEEEvT0_,"axG",@progbits,_ZN5aiter22opus_moe_sorting_entryINS_32MoeSortingMultiPhaseKernel_P0_v1INS_19MoeSortingProblemMpIifhLi4ELb1ELb1ELb1EEEEENS4_5KargsEEEvT0_,comdat
.Lfunc_end55:
	.size	_ZN5aiter22opus_moe_sorting_entryINS_32MoeSortingMultiPhaseKernel_P0_v1INS_19MoeSortingProblemMpIifhLi4ELb1ELb1ELb1EEEEENS4_5KargsEEEvT0_, .Lfunc_end55-_ZN5aiter22opus_moe_sorting_entryINS_32MoeSortingMultiPhaseKernel_P0_v1INS_19MoeSortingProblemMpIifhLi4ELb1ELb1ELb1EEEEENS4_5KargsEEEvT0_
                                        ; -- End function
	.section	.AMDGPU.csdata,"",@progbits
; Kernel info:
; codeLenInByte = 2040
; NumSgprs: 46
; NumVgprs: 36
; NumAgprs: 0
; TotalNumVgprs: 36
; ScratchSize: 0
; MemoryBound: 0
; FloatMode: 240
; IeeeMode: 1
; LDSByteSize: 0 bytes/workgroup (compile time only)
; SGPRBlocks: 5
; VGPRBlocks: 4
; NumSGPRsForWavesPerEU: 46
; NumVGPRsForWavesPerEU: 36
; AccumOffset: 36
; Occupancy: 8
; WaveLimiterHint : 1
; COMPUTE_PGM_RSRC2:SCRATCH_EN: 0
; COMPUTE_PGM_RSRC2:USER_SGPR: 6
; COMPUTE_PGM_RSRC2:TRAP_HANDLER: 0
; COMPUTE_PGM_RSRC2:TGID_X_EN: 1
; COMPUTE_PGM_RSRC2:TGID_Y_EN: 0
; COMPUTE_PGM_RSRC2:TGID_Z_EN: 0
; COMPUTE_PGM_RSRC2:TIDIG_COMP_CNT: 0
; COMPUTE_PGM_RSRC3_GFX90A:ACCUM_OFFSET: 8
; COMPUTE_PGM_RSRC3_GFX90A:TG_SPLIT: 0
	.section	.text._ZN5aiter22opus_moe_sorting_entryINS_29MoeSortingMultiPhaseKernel_P1INS_19MoeSortingProblemMpIifhLi16ELb1ELb1ELb1EEEEENS4_5KargsEEEvT0_,"axG",@progbits,_ZN5aiter22opus_moe_sorting_entryINS_29MoeSortingMultiPhaseKernel_P1INS_19MoeSortingProblemMpIifhLi16ELb1ELb1ELb1EEEEENS4_5KargsEEEvT0_,comdat
	.protected	_ZN5aiter22opus_moe_sorting_entryINS_29MoeSortingMultiPhaseKernel_P1INS_19MoeSortingProblemMpIifhLi16ELb1ELb1ELb1EEEEENS4_5KargsEEEvT0_ ; -- Begin function _ZN5aiter22opus_moe_sorting_entryINS_29MoeSortingMultiPhaseKernel_P1INS_19MoeSortingProblemMpIifhLi16ELb1ELb1ELb1EEEEENS4_5KargsEEEvT0_
	.globl	_ZN5aiter22opus_moe_sorting_entryINS_29MoeSortingMultiPhaseKernel_P1INS_19MoeSortingProblemMpIifhLi16ELb1ELb1ELb1EEEEENS4_5KargsEEEvT0_
	.p2align	8
	.type	_ZN5aiter22opus_moe_sorting_entryINS_29MoeSortingMultiPhaseKernel_P1INS_19MoeSortingProblemMpIifhLi16ELb1ELb1ELb1EEEEENS4_5KargsEEEvT0_,@function
_ZN5aiter22opus_moe_sorting_entryINS_29MoeSortingMultiPhaseKernel_P1INS_19MoeSortingProblemMpIifhLi16ELb1ELb1ELb1EEEEENS4_5KargsEEEvT0_: ; @_ZN5aiter22opus_moe_sorting_entryINS_29MoeSortingMultiPhaseKernel_P1INS_19MoeSortingProblemMpIifhLi16ELb1ELb1ELb1EEEEENS4_5KargsEEEvT0_
; %bb.0:
	s_load_dwordx8 s[8:15], s[4:5], 0x0
	s_ashr_i32 s7, s6, 31
	s_lshl_b64 s[0:1], s[6:7], 2
	s_waitcnt lgkmcnt(0)
	s_add_u32 s2, s8, s0
	s_addc_u32 s3, s9, s1
	s_load_dword s2, s[2:3], 0x0
	s_waitcnt lgkmcnt(0)
	s_cmp_eq_u32 s2, 0
	s_cbranch_scc1 .LBB56_11
; %bb.1:
	s_load_dword s2, s[10:11], 0x0
	s_waitcnt lgkmcnt(0)
	s_cmp_lt_i32 s2, 1
	s_cbranch_scc1 .LBB56_6
; %bb.2:
	s_add_i32 s2, s2, 31
	s_ashr_i32 s3, s2, 31
	s_lshr_b32 s3, s3, 27
	s_add_i32 s2, s2, s3
	s_ashr_i32 s2, s2, 5
	s_lshl_b32 s4, s2, 1
	s_mul_i32 s3, s6, s2
	s_add_i32 s2, s4, 0xff
	s_ashr_i32 s6, s2, 31
	s_lshr_b32 s6, s6, 24
	s_add_i32 s2, s2, s6
	s_lshl_b32 s3, s3, 5
	s_ashr_i32 s2, s2, 8
	v_mbcnt_lo_u32_b32 v2, -1, 0
	s_ashr_i32 s7, s3, 31
	v_mbcnt_hi_u32_b32 v2, -1, v2
	s_max_i32 s6, s2, 1
	v_lshlrev_b32_e32 v2, 2, v2
	s_add_u32 s2, s12, s3
	v_xor_b32_e32 v8, 4, v2
	v_xor_b32_e32 v10, 8, v2
	;; [unrolled: 1-line block ×6, first 2 shown]
	v_lshlrev_b32_e32 v2, 4, v0
	s_addc_u32 s3, s13, s7
	v_mov_b32_e32 v3, s3
	v_add_co_u32_e32 v6, vcc, s2, v2
	s_movk_i32 s5, 0xff
	v_mov_b32_e32 v1, 0
	v_addc_co_u32_e32 v7, vcc, 0, v3, vcc
	v_mov_b32_e32 v15, v0
	v_mov_b32_e32 v9, 0
	s_branch .LBB56_4
.LBB56_3:                               ;   in Loop: Header=BB56_4 Depth=1
	s_or_b64 exec, exec, s[2:3]
	s_waitcnt vmcnt(0)
	v_lshrrev_b32_e32 v18, 8, v2
	v_cmp_ne_u16_sdwa s[2:3], v18, v1 src0_sel:BYTE_0 src1_sel:DWORD
	v_cndmask_b32_e64 v18, 0, 1, s[2:3]
	v_cmp_ne_u16_sdwa vcc, v2, v1 src0_sel:BYTE_0 src1_sel:DWORD
	v_addc_co_u32_e32 v18, vcc, 0, v18, vcc
	v_and_b32_sdwa v19, v2, s5 dst_sel:DWORD dst_unused:UNUSED_PAD src0_sel:WORD_1 src1_sel:DWORD
	v_cmp_ne_u16_e32 vcc, 0, v19
	v_cndmask_b32_e64 v19, 0, 1, vcc
	v_cmp_ne_u16_sdwa vcc, v2, v1 src0_sel:BYTE_3 src1_sel:DWORD
	v_lshrrev_b32_e32 v16, 8, v3
	v_addc_co_u32_e32 v2, vcc, v18, v19, vcc
	v_cmp_ne_u16_sdwa s[2:3], v3, v1 src0_sel:BYTE_0 src1_sel:DWORD
	v_cndmask_b32_e64 v18, 0, 1, s[2:3]
	v_cmp_ne_u16_sdwa vcc, v16, v1 src0_sel:BYTE_0 src1_sel:DWORD
	v_addc_co_u32_e32 v2, vcc, v2, v18, vcc
	v_and_b32_sdwa v16, v3, s5 dst_sel:DWORD dst_unused:UNUSED_PAD src0_sel:WORD_1 src1_sel:DWORD
	v_cmp_ne_u16_e32 vcc, 0, v16
	v_cndmask_b32_e64 v16, 0, 1, vcc
	v_cmp_ne_u16_sdwa vcc, v3, v1 src0_sel:BYTE_3 src1_sel:DWORD
	v_addc_co_u32_e32 v2, vcc, v2, v16, vcc
	v_cmp_ne_u16_sdwa s[2:3], v4, v1 src0_sel:BYTE_0 src1_sel:DWORD
	v_lshrrev_b32_e32 v16, 8, v4
	v_cndmask_b32_e64 v3, 0, 1, s[2:3]
	v_cmp_ne_u16_sdwa vcc, v16, v1 src0_sel:BYTE_0 src1_sel:DWORD
	v_addc_co_u32_e32 v2, vcc, v2, v3, vcc
	v_and_b32_sdwa v3, v4, s5 dst_sel:DWORD dst_unused:UNUSED_PAD src0_sel:WORD_1 src1_sel:DWORD
	v_cmp_ne_u16_e32 vcc, 0, v3
	v_cndmask_b32_e64 v3, 0, 1, vcc
	v_cmp_ne_u16_sdwa vcc, v4, v1 src0_sel:BYTE_3 src1_sel:DWORD
	v_lshrrev_b32_e32 v17, 8, v5
	v_addc_co_u32_e32 v2, vcc, v2, v3, vcc
	v_cmp_ne_u16_sdwa s[2:3], v5, v1 src0_sel:BYTE_0 src1_sel:DWORD
	v_cndmask_b32_e64 v3, 0, 1, s[2:3]
	v_cmp_ne_u16_sdwa vcc, v17, v1 src0_sel:BYTE_0 src1_sel:DWORD
	v_addc_co_u32_e32 v2, vcc, v2, v3, vcc
	v_and_b32_sdwa v3, v5, s5 dst_sel:DWORD dst_unused:UNUSED_PAD src0_sel:WORD_1 src1_sel:DWORD
	v_cmp_ne_u16_e32 vcc, 0, v3
	v_cndmask_b32_e64 v3, 0, 1, vcc
	v_cmp_ne_u16_sdwa vcc, v5, v1 src0_sel:BYTE_3 src1_sel:DWORD
	v_addc_co_u32_e32 v2, vcc, v2, v3, vcc
	ds_bpermute_b32 v3, v8, v2
	s_add_i32 s6, s6, -1
	v_add_co_u32_e32 v6, vcc, 0x1000, v6
	v_addc_co_u32_e32 v7, vcc, 0, v7, vcc
	s_waitcnt lgkmcnt(0)
	v_add_u32_e32 v2, v2, v3
	ds_bpermute_b32 v3, v10, v2
	s_cmp_eq_u32 s6, 0
	v_add_u32_e32 v15, 0x100, v15
	s_waitcnt lgkmcnt(0)
	v_add_u32_e32 v2, v2, v3
	ds_bpermute_b32 v3, v11, v2
	s_waitcnt lgkmcnt(0)
	v_add_u32_e32 v2, v2, v3
	ds_bpermute_b32 v3, v12, v2
	;; [unrolled: 3-line block ×4, first 2 shown]
	s_waitcnt lgkmcnt(0)
	v_add3_u32 v9, v3, v9, v2
	s_cbranch_scc1 .LBB56_7
.LBB56_4:                               ; =>This Inner Loop Header: Depth=1
	v_cmp_gt_i32_e32 vcc, s4, v15
	v_mov_b32_e32 v2, 0
	v_mov_b32_e32 v3, 0
	;; [unrolled: 1-line block ×4, first 2 shown]
	s_and_saveexec_b64 s[2:3], vcc
	s_cbranch_execz .LBB56_3
; %bb.5:                                ;   in Loop: Header=BB56_4 Depth=1
	global_load_dwordx4 v[2:5], v[6:7], off
	s_branch .LBB56_3
.LBB56_6:
	v_mov_b32_e32 v9, 0
.LBB56_7:
	v_and_b32_e32 v1, 63, v0
	v_cmp_eq_u32_e32 vcc, 0, v1
	s_and_saveexec_b64 s[2:3], vcc
	s_cbranch_execz .LBB56_9
; %bb.8:
	v_lshrrev_b32_e32 v1, 4, v0
	ds_write_b32 v1, v9
.LBB56_9:
	s_or_b64 exec, exec, s[2:3]
	v_cmp_eq_u32_e32 vcc, 0, v0
	s_waitcnt lgkmcnt(0)
	s_barrier
	s_and_saveexec_b64 s[2:3], vcc
	s_cbranch_execz .LBB56_11
; %bb.10:
	v_mov_b32_e32 v4, 0
	ds_read_b128 v[0:3], v4
	s_add_u32 s0, s14, s0
	s_addc_u32 s1, s15, s1
	s_waitcnt lgkmcnt(0)
	v_add_u32_e32 v0, v1, v0
	v_add_u32_e32 v0, v0, v2
	;; [unrolled: 1-line block ×3, first 2 shown]
	global_store_dword v4, v0, s[0:1]
.LBB56_11:
	s_endpgm
	.section	.rodata,"a",@progbits
	.p2align	6, 0x0
	.amdhsa_kernel _ZN5aiter22opus_moe_sorting_entryINS_29MoeSortingMultiPhaseKernel_P1INS_19MoeSortingProblemMpIifhLi16ELb1ELb1ELb1EEEEENS4_5KargsEEEvT0_
		.amdhsa_group_segment_fixed_size 16
		.amdhsa_private_segment_fixed_size 0
		.amdhsa_kernarg_size 40
		.amdhsa_user_sgpr_count 6
		.amdhsa_user_sgpr_private_segment_buffer 1
		.amdhsa_user_sgpr_dispatch_ptr 0
		.amdhsa_user_sgpr_queue_ptr 0
		.amdhsa_user_sgpr_kernarg_segment_ptr 1
		.amdhsa_user_sgpr_dispatch_id 0
		.amdhsa_user_sgpr_flat_scratch_init 0
		.amdhsa_user_sgpr_kernarg_preload_length 0
		.amdhsa_user_sgpr_kernarg_preload_offset 0
		.amdhsa_user_sgpr_private_segment_size 0
		.amdhsa_uses_dynamic_stack 0
		.amdhsa_system_sgpr_private_segment_wavefront_offset 0
		.amdhsa_system_sgpr_workgroup_id_x 1
		.amdhsa_system_sgpr_workgroup_id_y 0
		.amdhsa_system_sgpr_workgroup_id_z 0
		.amdhsa_system_sgpr_workgroup_info 0
		.amdhsa_system_vgpr_workitem_id 0
		.amdhsa_next_free_vgpr 20
		.amdhsa_next_free_sgpr 16
		.amdhsa_accum_offset 20
		.amdhsa_reserve_vcc 1
		.amdhsa_reserve_flat_scratch 0
		.amdhsa_float_round_mode_32 0
		.amdhsa_float_round_mode_16_64 0
		.amdhsa_float_denorm_mode_32 3
		.amdhsa_float_denorm_mode_16_64 3
		.amdhsa_dx10_clamp 1
		.amdhsa_ieee_mode 1
		.amdhsa_fp16_overflow 0
		.amdhsa_tg_split 0
		.amdhsa_exception_fp_ieee_invalid_op 0
		.amdhsa_exception_fp_denorm_src 0
		.amdhsa_exception_fp_ieee_div_zero 0
		.amdhsa_exception_fp_ieee_overflow 0
		.amdhsa_exception_fp_ieee_underflow 0
		.amdhsa_exception_fp_ieee_inexact 0
		.amdhsa_exception_int_div_zero 0
	.end_amdhsa_kernel
	.section	.text._ZN5aiter22opus_moe_sorting_entryINS_29MoeSortingMultiPhaseKernel_P1INS_19MoeSortingProblemMpIifhLi16ELb1ELb1ELb1EEEEENS4_5KargsEEEvT0_,"axG",@progbits,_ZN5aiter22opus_moe_sorting_entryINS_29MoeSortingMultiPhaseKernel_P1INS_19MoeSortingProblemMpIifhLi16ELb1ELb1ELb1EEEEENS4_5KargsEEEvT0_,comdat
.Lfunc_end56:
	.size	_ZN5aiter22opus_moe_sorting_entryINS_29MoeSortingMultiPhaseKernel_P1INS_19MoeSortingProblemMpIifhLi16ELb1ELb1ELb1EEEEENS4_5KargsEEEvT0_, .Lfunc_end56-_ZN5aiter22opus_moe_sorting_entryINS_29MoeSortingMultiPhaseKernel_P1INS_19MoeSortingProblemMpIifhLi16ELb1ELb1ELb1EEEEENS4_5KargsEEEvT0_
                                        ; -- End function
	.section	.AMDGPU.csdata,"",@progbits
; Kernel info:
; codeLenInByte = 764
; NumSgprs: 20
; NumVgprs: 20
; NumAgprs: 0
; TotalNumVgprs: 20
; ScratchSize: 0
; MemoryBound: 0
; FloatMode: 240
; IeeeMode: 1
; LDSByteSize: 16 bytes/workgroup (compile time only)
; SGPRBlocks: 2
; VGPRBlocks: 2
; NumSGPRsForWavesPerEU: 20
; NumVGPRsForWavesPerEU: 20
; AccumOffset: 20
; Occupancy: 8
; WaveLimiterHint : 0
; COMPUTE_PGM_RSRC2:SCRATCH_EN: 0
; COMPUTE_PGM_RSRC2:USER_SGPR: 6
; COMPUTE_PGM_RSRC2:TRAP_HANDLER: 0
; COMPUTE_PGM_RSRC2:TGID_X_EN: 1
; COMPUTE_PGM_RSRC2:TGID_Y_EN: 0
; COMPUTE_PGM_RSRC2:TGID_Z_EN: 0
; COMPUTE_PGM_RSRC2:TIDIG_COMP_CNT: 0
; COMPUTE_PGM_RSRC3_GFX90A:ACCUM_OFFSET: 4
; COMPUTE_PGM_RSRC3_GFX90A:TG_SPLIT: 0
	.section	.text._ZN5aiter22opus_moe_sorting_entryINS_32MoeSortingMultiPhaseKernel_P0_v1INS_19MoeSortingProblemMpIifhLi4ELb1ELb0ELb1EEEEENS4_5KargsEEEvT0_,"axG",@progbits,_ZN5aiter22opus_moe_sorting_entryINS_32MoeSortingMultiPhaseKernel_P0_v1INS_19MoeSortingProblemMpIifhLi4ELb1ELb0ELb1EEEEENS4_5KargsEEEvT0_,comdat
	.protected	_ZN5aiter22opus_moe_sorting_entryINS_32MoeSortingMultiPhaseKernel_P0_v1INS_19MoeSortingProblemMpIifhLi4ELb1ELb0ELb1EEEEENS4_5KargsEEEvT0_ ; -- Begin function _ZN5aiter22opus_moe_sorting_entryINS_32MoeSortingMultiPhaseKernel_P0_v1INS_19MoeSortingProblemMpIifhLi4ELb1ELb0ELb1EEEEENS4_5KargsEEEvT0_
	.globl	_ZN5aiter22opus_moe_sorting_entryINS_32MoeSortingMultiPhaseKernel_P0_v1INS_19MoeSortingProblemMpIifhLi4ELb1ELb0ELb1EEEEENS4_5KargsEEEvT0_
	.p2align	8
	.type	_ZN5aiter22opus_moe_sorting_entryINS_32MoeSortingMultiPhaseKernel_P0_v1INS_19MoeSortingProblemMpIifhLi4ELb1ELb0ELb1EEEEENS4_5KargsEEEvT0_,@function
_ZN5aiter22opus_moe_sorting_entryINS_32MoeSortingMultiPhaseKernel_P0_v1INS_19MoeSortingProblemMpIifhLi4ELb1ELb0ELb1EEEEENS4_5KargsEEEvT0_: ; @_ZN5aiter22opus_moe_sorting_entryINS_32MoeSortingMultiPhaseKernel_P0_v1INS_19MoeSortingProblemMpIifhLi4ELb1ELb0ELb1EEEEENS4_5KargsEEEvT0_
; %bb.0:
	s_load_dwordx4 s[0:3], s[4:5], 0x18
	s_lshl_b32 s7, s6, 8
	v_add_u32_e32 v4, s7, v0
	s_waitcnt lgkmcnt(0)
	s_mul_i32 s0, s3, s0
	s_lshr_b32 s0, s0, 2
	v_cmp_gt_i32_e32 vcc, s0, v4
	s_and_saveexec_b64 s[8:9], vcc
	s_cbranch_execz .LBB57_41
; %bb.1:
	s_load_dword s34, s[4:5], 0x30
	s_load_dwordx2 s[8:9], s[4:5], 0x0
	s_load_dwordx2 s[10:11], s[4:5], 0x10
	;; [unrolled: 1-line block ×3, first 2 shown]
	s_lshl_b32 s4, s6, 10
	s_waitcnt lgkmcnt(0)
	s_lshl_b32 s23, s34, 10
	v_lshlrev_b32_e32 v1, 2, v0
	s_add_i32 s5, s4, s23
	s_lshl_b32 s27, s34, 11
	s_lshl_b32 s21, s34, 8
	;; [unrolled: 1-line block ×3, first 2 shown]
	v_add_u32_e32 v12, s5, v1
	s_add_i32 s5, s27, s4
	s_lshl_b32 s28, s34, 9
	s_mul_i32 s33, s34, 0xc00
	s_mulk_i32 s34, 0x300
	v_add_u32_e32 v8, s4, v1
	v_add_u32_e32 v17, s5, v1
	s_add_i32 s5, s7, s28
	s_add_i32 s7, s7, s34
	v_or_b32_e32 v9, 1, v8
	v_or_b32_e32 v10, 2, v8
	;; [unrolled: 1-line block ×3, first 2 shown]
	v_add_lshl_u32 v13, v4, s21, 2
	v_add_lshl_u32 v18, s5, v0, 2
	s_add_i32 s4, s33, s4
	v_add_lshl_u32 v23, s7, v0, 2
	s_mov_b32 s20, 0
	s_sub_i32 s3, 0, s3
	s_or_b32 s24, s23, 1
	v_or_b32_e32 v14, 1, v13
	s_or_b32 s25, s23, 2
	v_or_b32_e32 v15, 2, v13
	;; [unrolled: 2-line block ×6, first 2 shown]
	v_add_u32_e32 v22, s4, v1
	s_or_b32 s35, s33, 1
	v_or_b32_e32 v24, 1, v23
	s_or_b32 s36, s33, 2
	v_or_b32_e32 v25, 2, v23
	;; [unrolled: 2-line block ×3, first 2 shown]
	s_mov_b64 s[4:5], 0
	v_mov_b32_e32 v27, s9
	v_mov_b32_e32 v28, v11
	v_mov_b32_e32 v29, v10
	v_mov_b32_e32 v30, v9
	v_mov_b32_e32 v31, v8
	s_branch .LBB57_6
.LBB57_2:                               ;   in Loop: Header=BB57_6 Depth=1
	s_or_b64 exec, exec, s[18:19]
	s_add_i32 s18, s21, s21
	s_add_i32 s18, s18, s21
	v_add_u32_e32 v4, s18, v6
	v_cmp_le_i32_e32 vcc, s0, v4
	s_add_i32 s20, s20, s22
	v_add_u32_e32 v31, s22, v31
	v_add_u32_e32 v30, s22, v30
	;; [unrolled: 1-line block ×16, first 2 shown]
	s_orn2_b64 s[18:19], vcc, exec
.LBB57_3:                               ;   in Loop: Header=BB57_6 Depth=1
	s_or_b64 exec, exec, s[16:17]
	s_orn2_b64 s[16:17], s[18:19], exec
.LBB57_4:                               ;   in Loop: Header=BB57_6 Depth=1
	s_or_b64 exec, exec, s[14:15]
	s_orn2_b64 s[14:15], s[16:17], exec
.LBB57_5:                               ;   in Loop: Header=BB57_6 Depth=1
	s_or_b64 exec, exec, s[6:7]
	s_and_b64 s[6:7], exec, s[14:15]
	s_or_b64 s[4:5], s[6:7], s[4:5]
	s_andn2_b64 exec, exec, s[4:5]
	s_cbranch_execz .LBB57_41
.LBB57_6:                               ; =>This Inner Loop Header: Depth=1
	v_ashrrev_i32_e32 v5, 31, v4
	v_lshlrev_b64 v[0:1], 4, v[4:5]
	v_add_co_u32_e32 v0, vcc, s8, v0
	v_addc_co_u32_e32 v1, vcc, v27, v1, vcc
	global_load_dwordx4 v[0:3], v[0:1], off
	s_waitcnt vmcnt(0)
	v_cmp_gt_i32_e32 vcc, s1, v0
	s_and_saveexec_b64 s[6:7], vcc
	s_cbranch_execnz .LBB57_28
; %bb.7:                                ;   in Loop: Header=BB57_6 Depth=1
	s_or_b64 exec, exec, s[6:7]
	v_cmp_gt_i32_e32 vcc, s1, v1
	s_and_saveexec_b64 s[6:7], vcc
	s_cbranch_execnz .LBB57_29
.LBB57_8:                               ;   in Loop: Header=BB57_6 Depth=1
	s_or_b64 exec, exec, s[6:7]
	v_cmp_gt_i32_e32 vcc, s1, v2
	s_and_saveexec_b64 s[6:7], vcc
	s_cbranch_execnz .LBB57_30
.LBB57_9:                               ;   in Loop: Header=BB57_6 Depth=1
	s_or_b64 exec, exec, s[6:7]
	v_cmp_gt_i32_e32 vcc, s1, v3
	s_and_saveexec_b64 s[6:7], vcc
	s_cbranch_execz .LBB57_11
.LBB57_10:                              ;   in Loop: Header=BB57_6 Depth=1
	v_mul_hi_u32 v0, s12, v28
	v_add3_u32 v0, v11, v0, s20
	v_lshrrev_b32_e32 v0, s13, v0
	v_mul_lo_u32 v1, s3, v0
	v_add3_u32 v1, v8, s20, v1
	v_add_u16_e32 v2, 4, v1
	v_mad_u64_u32 v[0:1], s[14:15], v3, s2, v[0:1]
	global_store_byte v0, v2, s[10:11]
.LBB57_11:                              ;   in Loop: Header=BB57_6 Depth=1
	s_or_b64 exec, exec, s[6:7]
	v_add_u32_e32 v6, s21, v4
	v_cmp_gt_i32_e32 vcc, s0, v6
	s_mov_b64 s[14:15], -1
	s_and_saveexec_b64 s[6:7], vcc
	s_cbranch_execz .LBB57_5
; %bb.12:                               ;   in Loop: Header=BB57_6 Depth=1
	v_ashrrev_i32_e32 v7, 31, v6
	v_lshlrev_b64 v[0:1], 4, v[6:7]
	v_mov_b32_e32 v2, s9
	v_add_co_u32_e32 v0, vcc, s8, v0
	v_addc_co_u32_e32 v1, vcc, v2, v1, vcc
	global_load_dwordx4 v[0:3], v[0:1], off
	s_waitcnt vmcnt(0)
	v_cmp_gt_i32_e32 vcc, s1, v0
	s_and_saveexec_b64 s[14:15], vcc
	s_cbranch_execnz .LBB57_31
; %bb.13:                               ;   in Loop: Header=BB57_6 Depth=1
	s_or_b64 exec, exec, s[14:15]
	v_cmp_gt_i32_e32 vcc, s1, v1
	s_and_saveexec_b64 s[14:15], vcc
	s_cbranch_execnz .LBB57_32
.LBB57_14:                              ;   in Loop: Header=BB57_6 Depth=1
	s_or_b64 exec, exec, s[14:15]
	v_cmp_gt_i32_e32 vcc, s1, v2
	s_and_saveexec_b64 s[14:15], vcc
	s_cbranch_execnz .LBB57_33
.LBB57_15:                              ;   in Loop: Header=BB57_6 Depth=1
	s_or_b64 exec, exec, s[14:15]
	v_cmp_gt_i32_e32 vcc, s1, v3
	s_and_saveexec_b64 s[14:15], vcc
	s_cbranch_execz .LBB57_17
.LBB57_16:                              ;   in Loop: Header=BB57_6 Depth=1
	v_mul_hi_u32 v0, s12, v16
	v_add_u32_e32 v0, s26, v0
	v_add3_u32 v0, v8, s20, v0
	v_lshrrev_b32_e32 v0, s13, v0
	v_mul_lo_u32 v1, s3, v0
	v_add3_u32 v1, v12, s20, v1
	v_add_u16_e32 v2, 4, v1
	v_mad_u64_u32 v[0:1], s[16:17], v3, s2, v[0:1]
	global_store_byte v0, v2, s[10:11]
.LBB57_17:                              ;   in Loop: Header=BB57_6 Depth=1
	s_or_b64 exec, exec, s[14:15]
	v_add_u32_e32 v0, s28, v4
	v_cmp_gt_i32_e32 vcc, s0, v0
	s_mov_b64 s[16:17], -1
	s_and_saveexec_b64 s[14:15], vcc
	s_cbranch_execz .LBB57_4
; %bb.18:                               ;   in Loop: Header=BB57_6 Depth=1
	v_ashrrev_i32_e32 v1, 31, v0
	v_lshlrev_b64 v[0:1], 4, v[0:1]
	v_mov_b32_e32 v2, s9
	v_add_co_u32_e32 v0, vcc, s8, v0
	v_addc_co_u32_e32 v1, vcc, v2, v1, vcc
	global_load_dwordx4 v[0:3], v[0:1], off
	s_waitcnt vmcnt(0)
	v_cmp_gt_i32_e32 vcc, s1, v0
	s_and_saveexec_b64 s[16:17], vcc
	s_cbranch_execnz .LBB57_34
; %bb.19:                               ;   in Loop: Header=BB57_6 Depth=1
	s_or_b64 exec, exec, s[16:17]
	v_cmp_gt_i32_e32 vcc, s1, v1
	s_and_saveexec_b64 s[16:17], vcc
	s_cbranch_execnz .LBB57_35
.LBB57_20:                              ;   in Loop: Header=BB57_6 Depth=1
	s_or_b64 exec, exec, s[16:17]
	v_cmp_gt_i32_e32 vcc, s1, v2
	s_and_saveexec_b64 s[16:17], vcc
	s_cbranch_execnz .LBB57_36
.LBB57_21:                              ;   in Loop: Header=BB57_6 Depth=1
	s_or_b64 exec, exec, s[16:17]
	v_cmp_gt_i32_e32 vcc, s1, v3
	s_and_saveexec_b64 s[16:17], vcc
	s_cbranch_execz .LBB57_23
.LBB57_22:                              ;   in Loop: Header=BB57_6 Depth=1
	v_mul_hi_u32 v0, s12, v21
	v_add_u32_e32 v0, s31, v0
	v_add3_u32 v0, v8, s20, v0
	v_lshrrev_b32_e32 v0, s13, v0
	v_mul_lo_u32 v1, s3, v0
	v_add3_u32 v1, v17, s20, v1
	v_add_u16_e32 v2, 4, v1
	v_mad_u64_u32 v[0:1], s[18:19], v3, s2, v[0:1]
	global_store_byte v0, v2, s[10:11]
.LBB57_23:                              ;   in Loop: Header=BB57_6 Depth=1
	s_or_b64 exec, exec, s[16:17]
	v_add_u32_e32 v0, s34, v4
	v_cmp_gt_i32_e32 vcc, s0, v0
	s_mov_b64 s[18:19], -1
                                        ; implicit-def: $vgpr4
	s_and_saveexec_b64 s[16:17], vcc
	s_cbranch_execz .LBB57_3
; %bb.24:                               ;   in Loop: Header=BB57_6 Depth=1
	v_ashrrev_i32_e32 v1, 31, v0
	v_lshlrev_b64 v[0:1], 4, v[0:1]
	v_mov_b32_e32 v2, s9
	v_add_co_u32_e32 v0, vcc, s8, v0
	v_addc_co_u32_e32 v1, vcc, v2, v1, vcc
	global_load_dwordx4 v[0:3], v[0:1], off
	s_waitcnt vmcnt(0)
	v_cmp_gt_i32_e32 vcc, s1, v0
	s_and_saveexec_b64 s[18:19], vcc
	s_cbranch_execnz .LBB57_37
; %bb.25:                               ;   in Loop: Header=BB57_6 Depth=1
	s_or_b64 exec, exec, s[18:19]
	v_cmp_gt_i32_e32 vcc, s1, v1
	s_and_saveexec_b64 s[18:19], vcc
	s_cbranch_execnz .LBB57_38
.LBB57_26:                              ;   in Loop: Header=BB57_6 Depth=1
	s_or_b64 exec, exec, s[18:19]
	v_cmp_gt_i32_e32 vcc, s1, v2
	s_and_saveexec_b64 s[18:19], vcc
	s_cbranch_execnz .LBB57_39
.LBB57_27:                              ;   in Loop: Header=BB57_6 Depth=1
	s_or_b64 exec, exec, s[18:19]
	v_cmp_gt_i32_e32 vcc, s1, v3
	s_and_saveexec_b64 s[18:19], vcc
	s_cbranch_execz .LBB57_2
	s_branch .LBB57_40
.LBB57_28:                              ;   in Loop: Header=BB57_6 Depth=1
	v_mul_hi_u32 v5, s12, v31
	v_add_u32_e32 v6, s20, v8
	v_add_u32_e32 v5, v6, v5
	v_lshrrev_b32_e32 v32, s13, v5
	v_mad_u64_u32 v[6:7], s[14:15], s3, v32, v[6:7]
	v_add_u16_e32 v5, 1, v6
	v_mad_u64_u32 v[6:7], s[14:15], v0, s2, v[32:33]
	global_store_byte v6, v5, s[10:11]
	s_or_b64 exec, exec, s[6:7]
	v_cmp_gt_i32_e32 vcc, s1, v1
	s_and_saveexec_b64 s[6:7], vcc
	s_cbranch_execz .LBB57_8
.LBB57_29:                              ;   in Loop: Header=BB57_6 Depth=1
	v_mul_hi_u32 v0, s12, v30
	v_add3_u32 v0, v9, v0, s20
	v_lshrrev_b32_e32 v0, s13, v0
	v_mul_lo_u32 v5, s3, v0
	v_add3_u32 v5, v8, s20, v5
	v_add_u16_e32 v5, 2, v5
	v_mad_u64_u32 v[0:1], s[14:15], v1, s2, v[0:1]
	global_store_byte v0, v5, s[10:11]
	s_or_b64 exec, exec, s[6:7]
	v_cmp_gt_i32_e32 vcc, s1, v2
	s_and_saveexec_b64 s[6:7], vcc
	s_cbranch_execz .LBB57_9
.LBB57_30:                              ;   in Loop: Header=BB57_6 Depth=1
	v_mul_hi_u32 v0, s12, v29
	v_add3_u32 v0, v10, v0, s20
	v_lshrrev_b32_e32 v0, s13, v0
	v_mul_lo_u32 v1, s3, v0
	v_add3_u32 v1, v8, s20, v1
	v_add_u16_e32 v5, 3, v1
	v_mad_u64_u32 v[0:1], s[14:15], v2, s2, v[0:1]
	global_store_byte v0, v5, s[10:11]
	s_or_b64 exec, exec, s[6:7]
	v_cmp_gt_i32_e32 vcc, s1, v3
	s_and_saveexec_b64 s[6:7], vcc
	s_cbranch_execnz .LBB57_10
	s_branch .LBB57_11
.LBB57_31:                              ;   in Loop: Header=BB57_6 Depth=1
	v_mul_hi_u32 v5, s12, v13
	v_add_u32_e32 v5, s23, v5
	v_add3_u32 v5, v8, s20, v5
	v_lshrrev_b32_e32 v32, s13, v5
	v_mul_lo_u32 v5, s3, v32
	v_add3_u32 v5, v12, s20, v5
	v_add_u16_e32 v5, 1, v5
	v_mad_u64_u32 v[32:33], s[16:17], v0, s2, v[32:33]
	global_store_byte v32, v5, s[10:11]
	s_or_b64 exec, exec, s[14:15]
	v_cmp_gt_i32_e32 vcc, s1, v1
	s_and_saveexec_b64 s[14:15], vcc
	s_cbranch_execz .LBB57_14
.LBB57_32:                              ;   in Loop: Header=BB57_6 Depth=1
	v_mul_hi_u32 v0, s12, v14
	v_add_u32_e32 v0, s24, v0
	v_add3_u32 v0, v8, s20, v0
	v_lshrrev_b32_e32 v0, s13, v0
	v_mul_lo_u32 v5, s3, v0
	v_add3_u32 v5, v12, s20, v5
	v_add_u16_e32 v5, 2, v5
	v_mad_u64_u32 v[0:1], s[16:17], v1, s2, v[0:1]
	global_store_byte v0, v5, s[10:11]
	s_or_b64 exec, exec, s[14:15]
	v_cmp_gt_i32_e32 vcc, s1, v2
	s_and_saveexec_b64 s[14:15], vcc
	s_cbranch_execz .LBB57_15
.LBB57_33:                              ;   in Loop: Header=BB57_6 Depth=1
	v_mul_hi_u32 v0, s12, v15
	v_add_u32_e32 v0, s25, v0
	v_add3_u32 v0, v8, s20, v0
	v_lshrrev_b32_e32 v0, s13, v0
	v_mul_lo_u32 v1, s3, v0
	v_add3_u32 v1, v12, s20, v1
	v_add_u16_e32 v5, 3, v1
	v_mad_u64_u32 v[0:1], s[16:17], v2, s2, v[0:1]
	global_store_byte v0, v5, s[10:11]
	s_or_b64 exec, exec, s[14:15]
	v_cmp_gt_i32_e32 vcc, s1, v3
	s_and_saveexec_b64 s[14:15], vcc
	s_cbranch_execnz .LBB57_16
	s_branch .LBB57_17
.LBB57_34:                              ;   in Loop: Header=BB57_6 Depth=1
	v_mul_hi_u32 v5, s12, v18
	v_add_u32_e32 v5, s27, v5
	v_add3_u32 v5, v8, s20, v5
	v_lshrrev_b32_e32 v32, s13, v5
	v_mul_lo_u32 v5, s3, v32
	v_add3_u32 v5, v17, s20, v5
	v_add_u16_e32 v5, 1, v5
	v_mad_u64_u32 v[32:33], s[18:19], v0, s2, v[32:33]
	global_store_byte v32, v5, s[10:11]
	s_or_b64 exec, exec, s[16:17]
	v_cmp_gt_i32_e32 vcc, s1, v1
	s_and_saveexec_b64 s[16:17], vcc
	s_cbranch_execz .LBB57_20
.LBB57_35:                              ;   in Loop: Header=BB57_6 Depth=1
	v_mul_hi_u32 v0, s12, v19
	v_add_u32_e32 v0, s29, v0
	v_add3_u32 v0, v8, s20, v0
	v_lshrrev_b32_e32 v0, s13, v0
	v_mul_lo_u32 v5, s3, v0
	v_add3_u32 v5, v17, s20, v5
	v_add_u16_e32 v5, 2, v5
	v_mad_u64_u32 v[0:1], s[18:19], v1, s2, v[0:1]
	global_store_byte v0, v5, s[10:11]
	s_or_b64 exec, exec, s[16:17]
	v_cmp_gt_i32_e32 vcc, s1, v2
	s_and_saveexec_b64 s[16:17], vcc
	s_cbranch_execz .LBB57_21
.LBB57_36:                              ;   in Loop: Header=BB57_6 Depth=1
	v_mul_hi_u32 v0, s12, v20
	v_add_u32_e32 v0, s30, v0
	v_add3_u32 v0, v8, s20, v0
	v_lshrrev_b32_e32 v0, s13, v0
	v_mul_lo_u32 v1, s3, v0
	v_add3_u32 v1, v17, s20, v1
	v_add_u16_e32 v5, 3, v1
	v_mad_u64_u32 v[0:1], s[18:19], v2, s2, v[0:1]
	global_store_byte v0, v5, s[10:11]
	s_or_b64 exec, exec, s[16:17]
	v_cmp_gt_i32_e32 vcc, s1, v3
	s_and_saveexec_b64 s[16:17], vcc
	s_cbranch_execnz .LBB57_22
	s_branch .LBB57_23
.LBB57_37:                              ;   in Loop: Header=BB57_6 Depth=1
	v_mul_hi_u32 v4, s12, v23
	v_add_u32_e32 v4, s33, v4
	v_add3_u32 v4, v8, s20, v4
	v_lshrrev_b32_e32 v4, s13, v4
	v_mul_lo_u32 v5, s3, v4
	v_add3_u32 v5, v22, s20, v5
	v_add_u16_e32 v7, 1, v5
	v_mad_u64_u32 v[4:5], s[38:39], v0, s2, v[4:5]
	global_store_byte v4, v7, s[10:11]
	s_or_b64 exec, exec, s[18:19]
	v_cmp_gt_i32_e32 vcc, s1, v1
	s_and_saveexec_b64 s[18:19], vcc
	s_cbranch_execz .LBB57_26
.LBB57_38:                              ;   in Loop: Header=BB57_6 Depth=1
	v_mul_hi_u32 v0, s12, v24
	v_add_u32_e32 v0, s35, v0
	v_add3_u32 v0, v8, s20, v0
	v_lshrrev_b32_e32 v0, s13, v0
	v_mul_lo_u32 v4, s3, v0
	v_add3_u32 v4, v22, s20, v4
	v_add_u16_e32 v4, 2, v4
	v_mad_u64_u32 v[0:1], s[38:39], v1, s2, v[0:1]
	global_store_byte v0, v4, s[10:11]
	s_or_b64 exec, exec, s[18:19]
	v_cmp_gt_i32_e32 vcc, s1, v2
	s_and_saveexec_b64 s[18:19], vcc
	s_cbranch_execz .LBB57_27
.LBB57_39:                              ;   in Loop: Header=BB57_6 Depth=1
	v_mul_hi_u32 v0, s12, v25
	v_add_u32_e32 v0, s36, v0
	v_add3_u32 v0, v8, s20, v0
	v_lshrrev_b32_e32 v0, s13, v0
	v_mul_lo_u32 v1, s3, v0
	v_add3_u32 v1, v22, s20, v1
	v_add_u16_e32 v4, 3, v1
	v_mad_u64_u32 v[0:1], s[38:39], v2, s2, v[0:1]
	global_store_byte v0, v4, s[10:11]
	s_or_b64 exec, exec, s[18:19]
	v_cmp_gt_i32_e32 vcc, s1, v3
	s_and_saveexec_b64 s[18:19], vcc
	s_cbranch_execz .LBB57_2
.LBB57_40:                              ;   in Loop: Header=BB57_6 Depth=1
	v_mul_hi_u32 v0, s12, v26
	v_add_u32_e32 v0, s37, v0
	v_add3_u32 v0, v8, s20, v0
	v_lshrrev_b32_e32 v0, s13, v0
	v_mul_lo_u32 v1, s3, v0
	v_add3_u32 v1, v22, s20, v1
	v_add_u16_e32 v2, 4, v1
	v_mad_u64_u32 v[0:1], s[38:39], v3, s2, v[0:1]
	global_store_byte v0, v2, s[10:11]
	s_branch .LBB57_2
.LBB57_41:
	s_endpgm
	.section	.rodata,"a",@progbits
	.p2align	6, 0x0
	.amdhsa_kernel _ZN5aiter22opus_moe_sorting_entryINS_32MoeSortingMultiPhaseKernel_P0_v1INS_19MoeSortingProblemMpIifhLi4ELb1ELb0ELb1EEEEENS4_5KargsEEEvT0_
		.amdhsa_group_segment_fixed_size 0
		.amdhsa_private_segment_fixed_size 0
		.amdhsa_kernarg_size 304
		.amdhsa_user_sgpr_count 6
		.amdhsa_user_sgpr_private_segment_buffer 1
		.amdhsa_user_sgpr_dispatch_ptr 0
		.amdhsa_user_sgpr_queue_ptr 0
		.amdhsa_user_sgpr_kernarg_segment_ptr 1
		.amdhsa_user_sgpr_dispatch_id 0
		.amdhsa_user_sgpr_flat_scratch_init 0
		.amdhsa_user_sgpr_kernarg_preload_length 0
		.amdhsa_user_sgpr_kernarg_preload_offset 0
		.amdhsa_user_sgpr_private_segment_size 0
		.amdhsa_uses_dynamic_stack 0
		.amdhsa_system_sgpr_private_segment_wavefront_offset 0
		.amdhsa_system_sgpr_workgroup_id_x 1
		.amdhsa_system_sgpr_workgroup_id_y 0
		.amdhsa_system_sgpr_workgroup_id_z 0
		.amdhsa_system_sgpr_workgroup_info 0
		.amdhsa_system_vgpr_workitem_id 0
		.amdhsa_next_free_vgpr 34
		.amdhsa_next_free_sgpr 40
		.amdhsa_accum_offset 36
		.amdhsa_reserve_vcc 1
		.amdhsa_reserve_flat_scratch 0
		.amdhsa_float_round_mode_32 0
		.amdhsa_float_round_mode_16_64 0
		.amdhsa_float_denorm_mode_32 3
		.amdhsa_float_denorm_mode_16_64 3
		.amdhsa_dx10_clamp 1
		.amdhsa_ieee_mode 1
		.amdhsa_fp16_overflow 0
		.amdhsa_tg_split 0
		.amdhsa_exception_fp_ieee_invalid_op 0
		.amdhsa_exception_fp_denorm_src 0
		.amdhsa_exception_fp_ieee_div_zero 0
		.amdhsa_exception_fp_ieee_overflow 0
		.amdhsa_exception_fp_ieee_underflow 0
		.amdhsa_exception_fp_ieee_inexact 0
		.amdhsa_exception_int_div_zero 0
	.end_amdhsa_kernel
	.section	.text._ZN5aiter22opus_moe_sorting_entryINS_32MoeSortingMultiPhaseKernel_P0_v1INS_19MoeSortingProblemMpIifhLi4ELb1ELb0ELb1EEEEENS4_5KargsEEEvT0_,"axG",@progbits,_ZN5aiter22opus_moe_sorting_entryINS_32MoeSortingMultiPhaseKernel_P0_v1INS_19MoeSortingProblemMpIifhLi4ELb1ELb0ELb1EEEEENS4_5KargsEEEvT0_,comdat
.Lfunc_end57:
	.size	_ZN5aiter22opus_moe_sorting_entryINS_32MoeSortingMultiPhaseKernel_P0_v1INS_19MoeSortingProblemMpIifhLi4ELb1ELb0ELb1EEEEENS4_5KargsEEEvT0_, .Lfunc_end57-_ZN5aiter22opus_moe_sorting_entryINS_32MoeSortingMultiPhaseKernel_P0_v1INS_19MoeSortingProblemMpIifhLi4ELb1ELb0ELb1EEEEENS4_5KargsEEEvT0_
                                        ; -- End function
	.section	.AMDGPU.csdata,"",@progbits
; Kernel info:
; codeLenInByte = 2028
; NumSgprs: 44
; NumVgprs: 34
; NumAgprs: 0
; TotalNumVgprs: 34
; ScratchSize: 0
; MemoryBound: 0
; FloatMode: 240
; IeeeMode: 1
; LDSByteSize: 0 bytes/workgroup (compile time only)
; SGPRBlocks: 5
; VGPRBlocks: 4
; NumSGPRsForWavesPerEU: 44
; NumVGPRsForWavesPerEU: 34
; AccumOffset: 36
; Occupancy: 8
; WaveLimiterHint : 1
; COMPUTE_PGM_RSRC2:SCRATCH_EN: 0
; COMPUTE_PGM_RSRC2:USER_SGPR: 6
; COMPUTE_PGM_RSRC2:TRAP_HANDLER: 0
; COMPUTE_PGM_RSRC2:TGID_X_EN: 1
; COMPUTE_PGM_RSRC2:TGID_Y_EN: 0
; COMPUTE_PGM_RSRC2:TGID_Z_EN: 0
; COMPUTE_PGM_RSRC2:TIDIG_COMP_CNT: 0
; COMPUTE_PGM_RSRC3_GFX90A:ACCUM_OFFSET: 8
; COMPUTE_PGM_RSRC3_GFX90A:TG_SPLIT: 0
	.section	.text._ZN5aiter22opus_moe_sorting_entryINS_29MoeSortingMultiPhaseKernel_P1INS_19MoeSortingProblemMpIifhLi16ELb1ELb0ELb1EEEEENS4_5KargsEEEvT0_,"axG",@progbits,_ZN5aiter22opus_moe_sorting_entryINS_29MoeSortingMultiPhaseKernel_P1INS_19MoeSortingProblemMpIifhLi16ELb1ELb0ELb1EEEEENS4_5KargsEEEvT0_,comdat
	.protected	_ZN5aiter22opus_moe_sorting_entryINS_29MoeSortingMultiPhaseKernel_P1INS_19MoeSortingProblemMpIifhLi16ELb1ELb0ELb1EEEEENS4_5KargsEEEvT0_ ; -- Begin function _ZN5aiter22opus_moe_sorting_entryINS_29MoeSortingMultiPhaseKernel_P1INS_19MoeSortingProblemMpIifhLi16ELb1ELb0ELb1EEEEENS4_5KargsEEEvT0_
	.globl	_ZN5aiter22opus_moe_sorting_entryINS_29MoeSortingMultiPhaseKernel_P1INS_19MoeSortingProblemMpIifhLi16ELb1ELb0ELb1EEEEENS4_5KargsEEEvT0_
	.p2align	8
	.type	_ZN5aiter22opus_moe_sorting_entryINS_29MoeSortingMultiPhaseKernel_P1INS_19MoeSortingProblemMpIifhLi16ELb1ELb0ELb1EEEEENS4_5KargsEEEvT0_,@function
_ZN5aiter22opus_moe_sorting_entryINS_29MoeSortingMultiPhaseKernel_P1INS_19MoeSortingProblemMpIifhLi16ELb1ELb0ELb1EEEEENS4_5KargsEEEvT0_: ; @_ZN5aiter22opus_moe_sorting_entryINS_29MoeSortingMultiPhaseKernel_P1INS_19MoeSortingProblemMpIifhLi16ELb1ELb0ELb1EEEEENS4_5KargsEEEvT0_
; %bb.0:
	s_load_dwordx2 s[0:1], s[4:5], 0x0
	s_ashr_i32 s7, s6, 31
	s_lshl_b64 s[8:9], s[6:7], 2
	s_waitcnt lgkmcnt(0)
	s_add_u32 s0, s0, s8
	s_addc_u32 s1, s1, s9
	s_load_dword s0, s[0:1], 0x0
	s_waitcnt lgkmcnt(0)
	s_cmp_eq_u32 s0, 0
	s_cbranch_scc1 .LBB58_10
; %bb.1:
	s_load_dword s7, s[4:5], 0x20
	s_load_dwordx4 s[0:3], s[4:5], 0x10
	v_mov_b32_e32 v8, 0
	s_waitcnt lgkmcnt(0)
	s_cmp_lt_i32 s7, 16
	s_cbranch_scc1 .LBB58_6
; %bb.2:
	s_ashr_i32 s4, s7, 31
	s_lshr_b32 s4, s4, 28
	s_mul_i32 s10, s7, s6
	s_add_i32 s7, s7, s4
	s_ashr_i32 s4, s7, 4
	s_add_i32 s6, s4, 0xff
	s_ashr_i32 s7, s6, 31
	s_lshr_b32 s7, s7, 24
	s_add_i32 s6, s6, s7
	s_ashr_i32 s6, s6, 8
	v_mbcnt_lo_u32_b32 v2, -1, 0
	s_ashr_i32 s11, s10, 31
	v_mbcnt_hi_u32_b32 v2, -1, v2
	s_max_i32 s6, s6, 1
	v_lshlrev_b32_e32 v2, 2, v2
	s_add_u32 s0, s0, s10
	v_xor_b32_e32 v9, 4, v2
	v_xor_b32_e32 v10, 8, v2
	;; [unrolled: 1-line block ×6, first 2 shown]
	v_lshlrev_b32_e32 v2, 4, v0
	s_addc_u32 s1, s1, s11
	v_mov_b32_e32 v3, s1
	v_add_co_u32_e32 v6, vcc, s0, v2
	s_movk_i32 s5, 0xff
	v_mov_b32_e32 v1, 0
	v_addc_co_u32_e32 v7, vcc, 0, v3, vcc
	v_mov_b32_e32 v15, v0
	v_mov_b32_e32 v8, 0
	s_branch .LBB58_4
.LBB58_3:                               ;   in Loop: Header=BB58_4 Depth=1
	s_or_b64 exec, exec, s[0:1]
	s_waitcnt vmcnt(0)
	v_lshrrev_b32_e32 v18, 8, v2
	v_cmp_ne_u16_sdwa s[0:1], v18, v1 src0_sel:BYTE_0 src1_sel:DWORD
	v_cndmask_b32_e64 v18, 0, 1, s[0:1]
	v_cmp_ne_u16_sdwa vcc, v2, v1 src0_sel:BYTE_0 src1_sel:DWORD
	v_addc_co_u32_e32 v18, vcc, 0, v18, vcc
	v_and_b32_sdwa v19, v2, s5 dst_sel:DWORD dst_unused:UNUSED_PAD src0_sel:WORD_1 src1_sel:DWORD
	v_cmp_ne_u16_e32 vcc, 0, v19
	v_cndmask_b32_e64 v19, 0, 1, vcc
	v_cmp_ne_u16_sdwa vcc, v2, v1 src0_sel:BYTE_3 src1_sel:DWORD
	v_lshrrev_b32_e32 v16, 8, v3
	v_addc_co_u32_e32 v2, vcc, v18, v19, vcc
	v_cmp_ne_u16_sdwa s[0:1], v3, v1 src0_sel:BYTE_0 src1_sel:DWORD
	v_cndmask_b32_e64 v18, 0, 1, s[0:1]
	v_cmp_ne_u16_sdwa vcc, v16, v1 src0_sel:BYTE_0 src1_sel:DWORD
	v_addc_co_u32_e32 v2, vcc, v2, v18, vcc
	v_and_b32_sdwa v16, v3, s5 dst_sel:DWORD dst_unused:UNUSED_PAD src0_sel:WORD_1 src1_sel:DWORD
	v_cmp_ne_u16_e32 vcc, 0, v16
	v_cndmask_b32_e64 v16, 0, 1, vcc
	v_cmp_ne_u16_sdwa vcc, v3, v1 src0_sel:BYTE_3 src1_sel:DWORD
	v_addc_co_u32_e32 v2, vcc, v2, v16, vcc
	v_cmp_ne_u16_sdwa s[0:1], v4, v1 src0_sel:BYTE_0 src1_sel:DWORD
	v_lshrrev_b32_e32 v16, 8, v4
	v_cndmask_b32_e64 v3, 0, 1, s[0:1]
	v_cmp_ne_u16_sdwa vcc, v16, v1 src0_sel:BYTE_0 src1_sel:DWORD
	v_addc_co_u32_e32 v2, vcc, v2, v3, vcc
	v_and_b32_sdwa v3, v4, s5 dst_sel:DWORD dst_unused:UNUSED_PAD src0_sel:WORD_1 src1_sel:DWORD
	v_cmp_ne_u16_e32 vcc, 0, v3
	v_cndmask_b32_e64 v3, 0, 1, vcc
	v_cmp_ne_u16_sdwa vcc, v4, v1 src0_sel:BYTE_3 src1_sel:DWORD
	v_lshrrev_b32_e32 v17, 8, v5
	v_addc_co_u32_e32 v2, vcc, v2, v3, vcc
	v_cmp_ne_u16_sdwa s[0:1], v5, v1 src0_sel:BYTE_0 src1_sel:DWORD
	v_cndmask_b32_e64 v3, 0, 1, s[0:1]
	v_cmp_ne_u16_sdwa vcc, v17, v1 src0_sel:BYTE_0 src1_sel:DWORD
	v_addc_co_u32_e32 v2, vcc, v2, v3, vcc
	v_and_b32_sdwa v3, v5, s5 dst_sel:DWORD dst_unused:UNUSED_PAD src0_sel:WORD_1 src1_sel:DWORD
	v_cmp_ne_u16_e32 vcc, 0, v3
	v_cndmask_b32_e64 v3, 0, 1, vcc
	v_cmp_ne_u16_sdwa vcc, v5, v1 src0_sel:BYTE_3 src1_sel:DWORD
	v_addc_co_u32_e32 v2, vcc, v2, v3, vcc
	ds_bpermute_b32 v3, v9, v2
	s_add_i32 s6, s6, -1
	v_add_co_u32_e32 v6, vcc, 0x1000, v6
	v_addc_co_u32_e32 v7, vcc, 0, v7, vcc
	s_waitcnt lgkmcnt(0)
	v_add_u32_e32 v2, v2, v3
	ds_bpermute_b32 v3, v10, v2
	s_cmp_eq_u32 s6, 0
	v_add_u32_e32 v15, 0x100, v15
	s_waitcnt lgkmcnt(0)
	v_add_u32_e32 v2, v2, v3
	ds_bpermute_b32 v3, v11, v2
	s_waitcnt lgkmcnt(0)
	v_add_u32_e32 v2, v2, v3
	ds_bpermute_b32 v3, v12, v2
	;; [unrolled: 3-line block ×4, first 2 shown]
	s_waitcnt lgkmcnt(0)
	v_add3_u32 v8, v3, v8, v2
	s_cbranch_scc1 .LBB58_6
.LBB58_4:                               ; =>This Inner Loop Header: Depth=1
	v_cmp_gt_i32_e32 vcc, s4, v15
	v_mov_b32_e32 v2, 0
	v_mov_b32_e32 v3, 0
	;; [unrolled: 1-line block ×4, first 2 shown]
	s_and_saveexec_b64 s[0:1], vcc
	s_cbranch_execz .LBB58_3
; %bb.5:                                ;   in Loop: Header=BB58_4 Depth=1
	global_load_dwordx4 v[2:5], v[6:7], off
	s_branch .LBB58_3
.LBB58_6:
	v_and_b32_e32 v1, 63, v0
	v_cmp_eq_u32_e32 vcc, 0, v1
	s_and_saveexec_b64 s[0:1], vcc
	s_cbranch_execz .LBB58_8
; %bb.7:
	v_lshrrev_b32_e32 v1, 4, v0
	ds_write_b32 v1, v8
.LBB58_8:
	s_or_b64 exec, exec, s[0:1]
	v_cmp_eq_u32_e32 vcc, 0, v0
	s_waitcnt lgkmcnt(0)
	s_barrier
	s_and_saveexec_b64 s[0:1], vcc
	s_cbranch_execz .LBB58_10
; %bb.9:
	v_mov_b32_e32 v4, 0
	ds_read_b128 v[0:3], v4
	s_add_u32 s0, s2, s8
	s_addc_u32 s1, s3, s9
	s_waitcnt lgkmcnt(0)
	v_add_u32_e32 v0, v1, v0
	v_add_u32_e32 v0, v0, v2
	v_add_u32_e32 v0, v0, v3
	global_store_dword v4, v0, s[0:1]
.LBB58_10:
	s_endpgm
	.section	.rodata,"a",@progbits
	.p2align	6, 0x0
	.amdhsa_kernel _ZN5aiter22opus_moe_sorting_entryINS_29MoeSortingMultiPhaseKernel_P1INS_19MoeSortingProblemMpIifhLi16ELb1ELb0ELb1EEEEENS4_5KargsEEEvT0_
		.amdhsa_group_segment_fixed_size 16
		.amdhsa_private_segment_fixed_size 0
		.amdhsa_kernarg_size 40
		.amdhsa_user_sgpr_count 6
		.amdhsa_user_sgpr_private_segment_buffer 1
		.amdhsa_user_sgpr_dispatch_ptr 0
		.amdhsa_user_sgpr_queue_ptr 0
		.amdhsa_user_sgpr_kernarg_segment_ptr 1
		.amdhsa_user_sgpr_dispatch_id 0
		.amdhsa_user_sgpr_flat_scratch_init 0
		.amdhsa_user_sgpr_kernarg_preload_length 0
		.amdhsa_user_sgpr_kernarg_preload_offset 0
		.amdhsa_user_sgpr_private_segment_size 0
		.amdhsa_uses_dynamic_stack 0
		.amdhsa_system_sgpr_private_segment_wavefront_offset 0
		.amdhsa_system_sgpr_workgroup_id_x 1
		.amdhsa_system_sgpr_workgroup_id_y 0
		.amdhsa_system_sgpr_workgroup_id_z 0
		.amdhsa_system_sgpr_workgroup_info 0
		.amdhsa_system_vgpr_workitem_id 0
		.amdhsa_next_free_vgpr 20
		.amdhsa_next_free_sgpr 12
		.amdhsa_accum_offset 20
		.amdhsa_reserve_vcc 1
		.amdhsa_reserve_flat_scratch 0
		.amdhsa_float_round_mode_32 0
		.amdhsa_float_round_mode_16_64 0
		.amdhsa_float_denorm_mode_32 3
		.amdhsa_float_denorm_mode_16_64 3
		.amdhsa_dx10_clamp 1
		.amdhsa_ieee_mode 1
		.amdhsa_fp16_overflow 0
		.amdhsa_tg_split 0
		.amdhsa_exception_fp_ieee_invalid_op 0
		.amdhsa_exception_fp_denorm_src 0
		.amdhsa_exception_fp_ieee_div_zero 0
		.amdhsa_exception_fp_ieee_overflow 0
		.amdhsa_exception_fp_ieee_underflow 0
		.amdhsa_exception_fp_ieee_inexact 0
		.amdhsa_exception_int_div_zero 0
	.end_amdhsa_kernel
	.section	.text._ZN5aiter22opus_moe_sorting_entryINS_29MoeSortingMultiPhaseKernel_P1INS_19MoeSortingProblemMpIifhLi16ELb1ELb0ELb1EEEEENS4_5KargsEEEvT0_,"axG",@progbits,_ZN5aiter22opus_moe_sorting_entryINS_29MoeSortingMultiPhaseKernel_P1INS_19MoeSortingProblemMpIifhLi16ELb1ELb0ELb1EEEEENS4_5KargsEEEvT0_,comdat
.Lfunc_end58:
	.size	_ZN5aiter22opus_moe_sorting_entryINS_29MoeSortingMultiPhaseKernel_P1INS_19MoeSortingProblemMpIifhLi16ELb1ELb0ELb1EEEEENS4_5KargsEEEvT0_, .Lfunc_end58-_ZN5aiter22opus_moe_sorting_entryINS_29MoeSortingMultiPhaseKernel_P1INS_19MoeSortingProblemMpIifhLi16ELb1ELb0ELb1EEEEENS4_5KargsEEEvT0_
                                        ; -- End function
	.section	.AMDGPU.csdata,"",@progbits
; Kernel info:
; codeLenInByte = 760
; NumSgprs: 16
; NumVgprs: 20
; NumAgprs: 0
; TotalNumVgprs: 20
; ScratchSize: 0
; MemoryBound: 0
; FloatMode: 240
; IeeeMode: 1
; LDSByteSize: 16 bytes/workgroup (compile time only)
; SGPRBlocks: 1
; VGPRBlocks: 2
; NumSGPRsForWavesPerEU: 16
; NumVGPRsForWavesPerEU: 20
; AccumOffset: 20
; Occupancy: 8
; WaveLimiterHint : 0
; COMPUTE_PGM_RSRC2:SCRATCH_EN: 0
; COMPUTE_PGM_RSRC2:USER_SGPR: 6
; COMPUTE_PGM_RSRC2:TRAP_HANDLER: 0
; COMPUTE_PGM_RSRC2:TGID_X_EN: 1
; COMPUTE_PGM_RSRC2:TGID_Y_EN: 0
; COMPUTE_PGM_RSRC2:TGID_Z_EN: 0
; COMPUTE_PGM_RSRC2:TIDIG_COMP_CNT: 0
; COMPUTE_PGM_RSRC3_GFX90A:ACCUM_OFFSET: 4
; COMPUTE_PGM_RSRC3_GFX90A:TG_SPLIT: 0
	.section	.text._ZN5aiter22opus_moe_sorting_entryINS_32MoeSortingMultiPhaseKernel_P0_v1INS_19MoeSortingProblemMpIifhLi4ELb0ELb1ELb1EEEEENS4_5KargsEEEvT0_,"axG",@progbits,_ZN5aiter22opus_moe_sorting_entryINS_32MoeSortingMultiPhaseKernel_P0_v1INS_19MoeSortingProblemMpIifhLi4ELb0ELb1ELb1EEEEENS4_5KargsEEEvT0_,comdat
	.protected	_ZN5aiter22opus_moe_sorting_entryINS_32MoeSortingMultiPhaseKernel_P0_v1INS_19MoeSortingProblemMpIifhLi4ELb0ELb1ELb1EEEEENS4_5KargsEEEvT0_ ; -- Begin function _ZN5aiter22opus_moe_sorting_entryINS_32MoeSortingMultiPhaseKernel_P0_v1INS_19MoeSortingProblemMpIifhLi4ELb0ELb1ELb1EEEEENS4_5KargsEEEvT0_
	.globl	_ZN5aiter22opus_moe_sorting_entryINS_32MoeSortingMultiPhaseKernel_P0_v1INS_19MoeSortingProblemMpIifhLi4ELb0ELb1ELb1EEEEENS4_5KargsEEEvT0_
	.p2align	8
	.type	_ZN5aiter22opus_moe_sorting_entryINS_32MoeSortingMultiPhaseKernel_P0_v1INS_19MoeSortingProblemMpIifhLi4ELb0ELb1ELb1EEEEENS4_5KargsEEEvT0_,@function
_ZN5aiter22opus_moe_sorting_entryINS_32MoeSortingMultiPhaseKernel_P0_v1INS_19MoeSortingProblemMpIifhLi4ELb0ELb1ELb1EEEEENS4_5KargsEEEvT0_: ; @_ZN5aiter22opus_moe_sorting_entryINS_32MoeSortingMultiPhaseKernel_P0_v1INS_19MoeSortingProblemMpIifhLi4ELb0ELb1ELb1EEEEENS4_5KargsEEEvT0_
; %bb.0:
	s_load_dwordx4 s[8:11], s[4:5], 0x0
	s_load_dword s1, s[4:5], 0x24
	s_lshl_b32 s0, s6, 8
	v_add_u32_e32 v4, s0, v0
	s_waitcnt lgkmcnt(0)
	s_load_dword s16, s[10:11], 0x0
	s_waitcnt lgkmcnt(0)
	s_add_i32 s2, s16, 3
	s_ashr_i32 s3, s2, 31
	s_lshr_b32 s3, s3, 30
	s_add_i32 s2, s2, s3
	s_lshr_b32 s2, s2, 2
	s_mul_i32 s17, s1, s2
	s_andn2_b32 s17, s17, -2.0
	v_cmp_gt_i32_e32 vcc, s17, v4
	s_and_saveexec_b64 s[2:3], vcc
	s_cbranch_execz .LBB59_41
; %bb.1:
	s_load_dwordx2 s[2:3], s[4:5], 0x10
	s_load_dword s18, s[4:5], 0x1c
	s_load_dwordx2 s[10:11], s[4:5], 0x28
	s_load_dword s13, s[4:5], 0x30
	s_add_i32 s7, s16, 31
	s_ashr_i32 s12, s7, 31
	s_lshr_b32 s4, s12, 27
	s_sub_i32 s22, 0, s1
	s_waitcnt lgkmcnt(0)
	s_mul_i32 s23, s13, 0xc00
	s_lshl_b32 s1, s6, 10
	s_add_i32 s19, s7, s4
	s_add_i32 s4, s23, s1
	v_lshlrev_b32_e32 v1, 2, v0
	s_mul_i32 s26, s13, 0x300
	s_lshl_b32 s31, s13, 9
	s_lshl_b32 s21, s13, 8
	v_add_u32_e32 v9, s4, v1
	v_add_u32_e32 v10, s1, v1
	s_add_i32 s4, s0, s26
	s_lshl_b32 s29, s13, 11
	s_add_i32 s0, s0, s31
	s_lshl_b32 s35, s13, 10
	v_add_lshl_u32 v11, s4, v0, 2
	s_add_i32 s4, s29, s1
	v_add_lshl_u32 v16, s0, v0, 2
	s_add_i32 s1, s1, s35
	v_add_lshl_u32 v21, v4, s21, 2
	v_or_b32_e32 v25, 3, v10
	v_or_b32_e32 v26, 2, v10
	;; [unrolled: 1-line block ×3, first 2 shown]
	s_andn2_b32 s19, s19, 31
	s_mov_b32 s20, 0
	s_lshl_b32 s24, s13, 12
	s_or_b32 s25, s23, 3
	v_or_b32_e32 v12, 3, v11
	s_or_b32 s27, s23, 2
	v_or_b32_e32 v13, 2, v11
	;; [unrolled: 2-line block ×3, first 2 shown]
	v_add_u32_e32 v15, s4, v1
	s_or_b32 s30, s29, 3
	v_or_b32_e32 v17, 3, v16
	s_or_b32 s33, s29, 2
	v_or_b32_e32 v18, 2, v16
	;; [unrolled: 2-line block ×3, first 2 shown]
	v_add_u32_e32 v20, s1, v1
	s_or_b32 s36, s35, 3
	v_or_b32_e32 v22, 3, v21
	s_or_b32 s37, s35, 2
	v_or_b32_e32 v23, 2, v21
	;; [unrolled: 2-line block ×3, first 2 shown]
	s_mov_b64 s[4:5], 0
	v_mov_b32_e32 v28, s9
	v_mov_b32_e32 v29, v10
	v_mov_b32_e32 v30, v27
	v_mov_b32_e32 v31, v26
	v_mov_b32_e32 v32, v25
	s_branch .LBB59_6
.LBB59_2:                               ;   in Loop: Header=BB59_6 Depth=1
	s_or_b64 exec, exec, s[0:1]
	s_add_i32 s0, s21, s21
	s_add_i32 s0, s0, s21
	v_add_u32_e32 v4, s0, v6
	v_cmp_le_i32_e32 vcc, s17, v4
	s_add_i32 s20, s20, s24
	v_add_u32_e32 v12, s24, v12
	v_add_u32_e32 v13, s24, v13
	v_add_u32_e32 v14, s24, v14
	v_add_u32_e32 v11, s24, v11
	v_add_u32_e32 v17, s24, v17
	v_add_u32_e32 v18, s24, v18
	v_add_u32_e32 v19, s24, v19
	v_add_u32_e32 v16, s24, v16
	v_add_u32_e32 v22, s24, v22
	v_add_u32_e32 v23, s24, v23
	v_add_u32_e32 v24, s24, v24
	v_add_u32_e32 v21, s24, v21
	v_add_u32_e32 v32, s24, v32
	v_add_u32_e32 v31, s24, v31
	v_add_u32_e32 v30, s24, v30
	v_add_u32_e32 v29, s24, v29
	s_orn2_b64 s[0:1], vcc, exec
.LBB59_3:                               ;   in Loop: Header=BB59_6 Depth=1
	s_or_b64 exec, exec, s[14:15]
	s_orn2_b64 s[0:1], s[0:1], exec
.LBB59_4:                               ;   in Loop: Header=BB59_6 Depth=1
	s_or_b64 exec, exec, s[12:13]
	s_orn2_b64 s[0:1], s[0:1], exec
.LBB59_5:                               ;   in Loop: Header=BB59_6 Depth=1
	s_or_b64 exec, exec, s[6:7]
	s_and_b64 s[0:1], exec, s[0:1]
	s_or_b64 s[4:5], s[0:1], s[4:5]
	s_andn2_b64 exec, exec, s[4:5]
	s_cbranch_execz .LBB59_41
.LBB59_6:                               ; =>This Inner Loop Header: Depth=1
	v_ashrrev_i32_e32 v5, 31, v4
	v_lshlrev_b64 v[0:1], 4, v[4:5]
	v_add_co_u32_e32 v0, vcc, s8, v0
	v_addc_co_u32_e32 v1, vcc, v28, v1, vcc
	global_load_dwordx4 v[0:3], v[0:1], off
	v_mul_hi_u32 v5, s10, v29
	v_add3_u32 v5, v10, v5, s20
	v_lshrrev_b32_e32 v6, s11, v5
	v_cmp_gt_i32_e64 s[0:1], s16, v6
	s_waitcnt vmcnt(0)
	v_cmp_gt_i32_e32 vcc, s18, v0
	s_and_b64 s[6:7], vcc, s[0:1]
	s_and_saveexec_b64 s[0:1], s[6:7]
	s_cbranch_execz .LBB59_8
; %bb.7:                                ;   in Loop: Header=BB59_6 Depth=1
	v_mul_lo_u32 v5, s22, v6
	v_add3_u32 v5, v10, s20, v5
	v_add_u16_e32 v5, 1, v5
	v_mad_u64_u32 v[6:7], s[6:7], v0, s19, v[6:7]
	global_store_byte v6, v5, s[2:3]
.LBB59_8:                               ;   in Loop: Header=BB59_6 Depth=1
	s_or_b64 exec, exec, s[0:1]
	v_mul_hi_u32 v0, s10, v30
	v_add3_u32 v0, v27, v0, s20
	v_lshrrev_b32_e32 v0, s11, v0
	v_cmp_gt_i32_e32 vcc, s18, v1
	v_cmp_gt_i32_e64 s[0:1], s16, v0
	s_and_b64 s[6:7], vcc, s[0:1]
	s_and_saveexec_b64 s[0:1], s[6:7]
	s_cbranch_execz .LBB59_10
; %bb.9:                                ;   in Loop: Header=BB59_6 Depth=1
	v_mul_lo_u32 v5, s22, v0
	v_add3_u32 v5, v10, s20, v5
	v_add_u16_e32 v5, 2, v5
	v_mad_u64_u32 v[0:1], s[6:7], v1, s19, v[0:1]
	global_store_byte v0, v5, s[2:3]
.LBB59_10:                              ;   in Loop: Header=BB59_6 Depth=1
	s_or_b64 exec, exec, s[0:1]
	v_mul_hi_u32 v0, s10, v31
	v_add3_u32 v0, v26, v0, s20
	v_lshrrev_b32_e32 v0, s11, v0
	v_cmp_gt_i32_e32 vcc, s18, v2
	v_cmp_gt_i32_e64 s[0:1], s16, v0
	s_and_b64 s[6:7], vcc, s[0:1]
	s_and_saveexec_b64 s[0:1], s[6:7]
	s_cbranch_execz .LBB59_12
; %bb.11:                               ;   in Loop: Header=BB59_6 Depth=1
	v_mul_lo_u32 v1, s22, v0
	v_add3_u32 v1, v10, s20, v1
	v_add_u16_e32 v5, 3, v1
	v_mad_u64_u32 v[0:1], s[6:7], v2, s19, v[0:1]
	global_store_byte v0, v5, s[2:3]
.LBB59_12:                              ;   in Loop: Header=BB59_6 Depth=1
	s_or_b64 exec, exec, s[0:1]
	v_mul_hi_u32 v0, s10, v32
	v_add3_u32 v0, v25, v0, s20
	v_lshrrev_b32_e32 v0, s11, v0
	v_cmp_gt_i32_e32 vcc, s18, v3
	v_cmp_gt_i32_e64 s[0:1], s16, v0
	s_and_b64 s[6:7], vcc, s[0:1]
	s_and_saveexec_b64 s[0:1], s[6:7]
	s_cbranch_execz .LBB59_14
; %bb.13:                               ;   in Loop: Header=BB59_6 Depth=1
	v_mul_lo_u32 v1, s22, v0
	v_add3_u32 v1, v10, s20, v1
	v_add_u16_e32 v2, 4, v1
	v_mad_u64_u32 v[0:1], s[6:7], v3, s19, v[0:1]
	global_store_byte v0, v2, s[2:3]
.LBB59_14:                              ;   in Loop: Header=BB59_6 Depth=1
	s_or_b64 exec, exec, s[0:1]
	v_add_u32_e32 v6, s21, v4
	v_cmp_gt_i32_e32 vcc, s17, v6
	s_mov_b64 s[0:1], -1
	s_and_saveexec_b64 s[6:7], vcc
	s_cbranch_execz .LBB59_5
; %bb.15:                               ;   in Loop: Header=BB59_6 Depth=1
	v_ashrrev_i32_e32 v7, 31, v6
	v_lshlrev_b64 v[0:1], 4, v[6:7]
	v_mov_b32_e32 v2, s9
	v_add_co_u32_e32 v0, vcc, s8, v0
	v_addc_co_u32_e32 v1, vcc, v2, v1, vcc
	global_load_dwordx4 v[0:3], v[0:1], off
	v_mul_hi_u32 v7, s10, v21
	v_add_u32_e32 v5, s20, v10
	v_add3_u32 v7, s35, v7, v5
	v_lshrrev_b32_e32 v8, s11, v7
	v_cmp_gt_i32_e64 s[0:1], s16, v8
	s_waitcnt vmcnt(0)
	v_cmp_gt_i32_e32 vcc, s18, v0
	s_and_b64 s[12:13], vcc, s[0:1]
	s_and_saveexec_b64 s[0:1], s[12:13]
	s_cbranch_execz .LBB59_17
; %bb.16:                               ;   in Loop: Header=BB59_6 Depth=1
	v_mul_lo_u32 v7, s22, v8
	v_add3_u32 v7, v20, s20, v7
	v_add_u16_e32 v7, 1, v7
	v_mad_u64_u32 v[34:35], s[12:13], v0, s19, v[8:9]
	global_store_byte v34, v7, s[2:3]
.LBB59_17:                              ;   in Loop: Header=BB59_6 Depth=1
	s_or_b64 exec, exec, s[0:1]
	v_mul_hi_u32 v0, s10, v24
	v_add3_u32 v0, s38, v0, v5
	v_lshrrev_b32_e32 v0, s11, v0
	v_cmp_gt_i32_e32 vcc, s18, v1
	v_cmp_gt_i32_e64 s[0:1], s16, v0
	s_and_b64 s[12:13], vcc, s[0:1]
	s_and_saveexec_b64 s[0:1], s[12:13]
	s_cbranch_execz .LBB59_19
; %bb.18:                               ;   in Loop: Header=BB59_6 Depth=1
	v_mul_lo_u32 v7, s22, v0
	v_add3_u32 v7, v20, s20, v7
	v_add_u16_e32 v7, 2, v7
	v_mad_u64_u32 v[0:1], s[12:13], v1, s19, v[0:1]
	global_store_byte v0, v7, s[2:3]
.LBB59_19:                              ;   in Loop: Header=BB59_6 Depth=1
	s_or_b64 exec, exec, s[0:1]
	v_mul_hi_u32 v0, s10, v23
	v_add3_u32 v0, s37, v0, v5
	v_lshrrev_b32_e32 v0, s11, v0
	v_cmp_gt_i32_e32 vcc, s18, v2
	v_cmp_gt_i32_e64 s[0:1], s16, v0
	;; [unrolled: 16-line block ×3, first 2 shown]
	s_and_b64 s[12:13], vcc, s[0:1]
	s_and_saveexec_b64 s[0:1], s[12:13]
	s_cbranch_execz .LBB59_23
; %bb.22:                               ;   in Loop: Header=BB59_6 Depth=1
	v_mul_lo_u32 v1, s22, v0
	v_add3_u32 v1, v20, s20, v1
	v_add_u16_e32 v2, 4, v1
	v_mad_u64_u32 v[0:1], s[12:13], v3, s19, v[0:1]
	global_store_byte v0, v2, s[2:3]
.LBB59_23:                              ;   in Loop: Header=BB59_6 Depth=1
	s_or_b64 exec, exec, s[0:1]
	v_add_u32_e32 v0, s31, v4
	v_cmp_gt_i32_e32 vcc, s17, v0
	s_mov_b64 s[0:1], -1
	s_and_saveexec_b64 s[12:13], vcc
	s_cbranch_execz .LBB59_4
; %bb.24:                               ;   in Loop: Header=BB59_6 Depth=1
	v_ashrrev_i32_e32 v1, 31, v0
	v_lshlrev_b64 v[0:1], 4, v[0:1]
	v_mov_b32_e32 v2, s9
	v_add_co_u32_e32 v0, vcc, s8, v0
	v_addc_co_u32_e32 v1, vcc, v2, v1, vcc
	global_load_dwordx4 v[0:3], v[0:1], off
	v_mul_hi_u32 v7, s10, v16
	v_add3_u32 v7, s29, v7, v5
	v_lshrrev_b32_e32 v8, s11, v7
	v_cmp_gt_i32_e64 s[0:1], s16, v8
	s_waitcnt vmcnt(0)
	v_cmp_gt_i32_e32 vcc, s18, v0
	s_and_b64 s[14:15], vcc, s[0:1]
	s_and_saveexec_b64 s[0:1], s[14:15]
	s_cbranch_execz .LBB59_26
; %bb.25:                               ;   in Loop: Header=BB59_6 Depth=1
	v_mul_lo_u32 v7, s22, v8
	v_add3_u32 v7, v15, s20, v7
	v_add_u16_e32 v7, 1, v7
	v_mad_u64_u32 v[34:35], s[14:15], v0, s19, v[8:9]
	global_store_byte v34, v7, s[2:3]
.LBB59_26:                              ;   in Loop: Header=BB59_6 Depth=1
	s_or_b64 exec, exec, s[0:1]
	v_mul_hi_u32 v0, s10, v19
	v_add3_u32 v0, s34, v0, v5
	v_lshrrev_b32_e32 v0, s11, v0
	v_cmp_gt_i32_e32 vcc, s18, v1
	v_cmp_gt_i32_e64 s[0:1], s16, v0
	s_and_b64 s[14:15], vcc, s[0:1]
	s_and_saveexec_b64 s[0:1], s[14:15]
	s_cbranch_execz .LBB59_28
; %bb.27:                               ;   in Loop: Header=BB59_6 Depth=1
	v_mul_lo_u32 v7, s22, v0
	v_add3_u32 v7, v15, s20, v7
	v_add_u16_e32 v7, 2, v7
	v_mad_u64_u32 v[0:1], s[14:15], v1, s19, v[0:1]
	global_store_byte v0, v7, s[2:3]
.LBB59_28:                              ;   in Loop: Header=BB59_6 Depth=1
	s_or_b64 exec, exec, s[0:1]
	v_mul_hi_u32 v0, s10, v18
	v_add3_u32 v0, s33, v0, v5
	v_lshrrev_b32_e32 v0, s11, v0
	v_cmp_gt_i32_e32 vcc, s18, v2
	v_cmp_gt_i32_e64 s[0:1], s16, v0
	;; [unrolled: 16-line block ×3, first 2 shown]
	s_and_b64 s[14:15], vcc, s[0:1]
	s_and_saveexec_b64 s[0:1], s[14:15]
	s_cbranch_execz .LBB59_32
; %bb.31:                               ;   in Loop: Header=BB59_6 Depth=1
	v_mul_lo_u32 v1, s22, v0
	v_add3_u32 v1, v15, s20, v1
	v_add_u16_e32 v2, 4, v1
	v_mad_u64_u32 v[0:1], s[14:15], v3, s19, v[0:1]
	global_store_byte v0, v2, s[2:3]
.LBB59_32:                              ;   in Loop: Header=BB59_6 Depth=1
	s_or_b64 exec, exec, s[0:1]
	v_add_u32_e32 v0, s26, v4
	v_cmp_gt_i32_e32 vcc, s17, v0
	s_mov_b64 s[0:1], -1
                                        ; implicit-def: $vgpr4
	s_and_saveexec_b64 s[14:15], vcc
	s_cbranch_execz .LBB59_3
; %bb.33:                               ;   in Loop: Header=BB59_6 Depth=1
	v_ashrrev_i32_e32 v1, 31, v0
	v_lshlrev_b64 v[0:1], 4, v[0:1]
	v_mov_b32_e32 v2, s9
	v_add_co_u32_e32 v0, vcc, s8, v0
	v_addc_co_u32_e32 v1, vcc, v2, v1, vcc
	global_load_dwordx4 v[0:3], v[0:1], off
	v_mul_hi_u32 v4, s10, v11
	v_add3_u32 v4, s23, v4, v5
	v_lshrrev_b32_e32 v4, s11, v4
	v_cmp_gt_i32_e64 s[0:1], s16, v4
	s_waitcnt vmcnt(0)
	v_cmp_gt_i32_e32 vcc, s18, v0
	s_and_b64 s[40:41], vcc, s[0:1]
	s_and_saveexec_b64 s[0:1], s[40:41]
	s_cbranch_execz .LBB59_35
; %bb.34:                               ;   in Loop: Header=BB59_6 Depth=1
	v_mul_lo_u32 v7, s22, v4
	v_add3_u32 v7, v9, s20, v7
	v_add_u16_e32 v7, 1, v7
	v_mad_u64_u32 v[34:35], s[40:41], v0, s19, v[4:5]
	global_store_byte v34, v7, s[2:3]
.LBB59_35:                              ;   in Loop: Header=BB59_6 Depth=1
	s_or_b64 exec, exec, s[0:1]
	v_mul_hi_u32 v0, s10, v14
	v_add3_u32 v0, s28, v0, v5
	v_lshrrev_b32_e32 v0, s11, v0
	v_cmp_gt_i32_e32 vcc, s18, v1
	v_cmp_gt_i32_e64 s[0:1], s16, v0
	s_and_b64 s[40:41], vcc, s[0:1]
	s_and_saveexec_b64 s[0:1], s[40:41]
	s_cbranch_execz .LBB59_37
; %bb.36:                               ;   in Loop: Header=BB59_6 Depth=1
	v_mul_lo_u32 v4, s22, v0
	v_add3_u32 v4, v9, s20, v4
	v_add_u16_e32 v4, 2, v4
	v_mad_u64_u32 v[0:1], s[40:41], v1, s19, v[0:1]
	global_store_byte v0, v4, s[2:3]
.LBB59_37:                              ;   in Loop: Header=BB59_6 Depth=1
	s_or_b64 exec, exec, s[0:1]
	v_mul_hi_u32 v0, s10, v13
	v_add3_u32 v0, s27, v0, v5
	v_lshrrev_b32_e32 v0, s11, v0
	v_cmp_gt_i32_e32 vcc, s18, v2
	v_cmp_gt_i32_e64 s[0:1], s16, v0
	;; [unrolled: 16-line block ×3, first 2 shown]
	s_and_b64 s[40:41], vcc, s[0:1]
	s_and_saveexec_b64 s[0:1], s[40:41]
	s_cbranch_execz .LBB59_2
; %bb.40:                               ;   in Loop: Header=BB59_6 Depth=1
	v_mul_lo_u32 v1, s22, v0
	v_add3_u32 v1, v9, s20, v1
	v_add_u16_e32 v2, 4, v1
	v_mad_u64_u32 v[0:1], s[40:41], v3, s19, v[0:1]
	global_store_byte v0, v2, s[2:3]
	s_branch .LBB59_2
.LBB59_41:
	s_endpgm
	.section	.rodata,"a",@progbits
	.p2align	6, 0x0
	.amdhsa_kernel _ZN5aiter22opus_moe_sorting_entryINS_32MoeSortingMultiPhaseKernel_P0_v1INS_19MoeSortingProblemMpIifhLi4ELb0ELb1ELb1EEEEENS4_5KargsEEEvT0_
		.amdhsa_group_segment_fixed_size 0
		.amdhsa_private_segment_fixed_size 0
		.amdhsa_kernarg_size 304
		.amdhsa_user_sgpr_count 6
		.amdhsa_user_sgpr_private_segment_buffer 1
		.amdhsa_user_sgpr_dispatch_ptr 0
		.amdhsa_user_sgpr_queue_ptr 0
		.amdhsa_user_sgpr_kernarg_segment_ptr 1
		.amdhsa_user_sgpr_dispatch_id 0
		.amdhsa_user_sgpr_flat_scratch_init 0
		.amdhsa_user_sgpr_kernarg_preload_length 0
		.amdhsa_user_sgpr_kernarg_preload_offset 0
		.amdhsa_user_sgpr_private_segment_size 0
		.amdhsa_uses_dynamic_stack 0
		.amdhsa_system_sgpr_private_segment_wavefront_offset 0
		.amdhsa_system_sgpr_workgroup_id_x 1
		.amdhsa_system_sgpr_workgroup_id_y 0
		.amdhsa_system_sgpr_workgroup_id_z 0
		.amdhsa_system_sgpr_workgroup_info 0
		.amdhsa_system_vgpr_workitem_id 0
		.amdhsa_next_free_vgpr 36
		.amdhsa_next_free_sgpr 42
		.amdhsa_accum_offset 36
		.amdhsa_reserve_vcc 1
		.amdhsa_reserve_flat_scratch 0
		.amdhsa_float_round_mode_32 0
		.amdhsa_float_round_mode_16_64 0
		.amdhsa_float_denorm_mode_32 3
		.amdhsa_float_denorm_mode_16_64 3
		.amdhsa_dx10_clamp 1
		.amdhsa_ieee_mode 1
		.amdhsa_fp16_overflow 0
		.amdhsa_tg_split 0
		.amdhsa_exception_fp_ieee_invalid_op 0
		.amdhsa_exception_fp_denorm_src 0
		.amdhsa_exception_fp_ieee_div_zero 0
		.amdhsa_exception_fp_ieee_overflow 0
		.amdhsa_exception_fp_ieee_underflow 0
		.amdhsa_exception_fp_ieee_inexact 0
		.amdhsa_exception_int_div_zero 0
	.end_amdhsa_kernel
	.section	.text._ZN5aiter22opus_moe_sorting_entryINS_32MoeSortingMultiPhaseKernel_P0_v1INS_19MoeSortingProblemMpIifhLi4ELb0ELb1ELb1EEEEENS4_5KargsEEEvT0_,"axG",@progbits,_ZN5aiter22opus_moe_sorting_entryINS_32MoeSortingMultiPhaseKernel_P0_v1INS_19MoeSortingProblemMpIifhLi4ELb0ELb1ELb1EEEEENS4_5KargsEEEvT0_,comdat
.Lfunc_end59:
	.size	_ZN5aiter22opus_moe_sorting_entryINS_32MoeSortingMultiPhaseKernel_P0_v1INS_19MoeSortingProblemMpIifhLi4ELb0ELb1ELb1EEEEENS4_5KargsEEEvT0_, .Lfunc_end59-_ZN5aiter22opus_moe_sorting_entryINS_32MoeSortingMultiPhaseKernel_P0_v1INS_19MoeSortingProblemMpIifhLi4ELb0ELb1ELb1EEEEENS4_5KargsEEEvT0_
                                        ; -- End function
	.section	.AMDGPU.csdata,"",@progbits
; Kernel info:
; codeLenInByte = 2040
; NumSgprs: 46
; NumVgprs: 36
; NumAgprs: 0
; TotalNumVgprs: 36
; ScratchSize: 0
; MemoryBound: 0
; FloatMode: 240
; IeeeMode: 1
; LDSByteSize: 0 bytes/workgroup (compile time only)
; SGPRBlocks: 5
; VGPRBlocks: 4
; NumSGPRsForWavesPerEU: 46
; NumVGPRsForWavesPerEU: 36
; AccumOffset: 36
; Occupancy: 8
; WaveLimiterHint : 1
; COMPUTE_PGM_RSRC2:SCRATCH_EN: 0
; COMPUTE_PGM_RSRC2:USER_SGPR: 6
; COMPUTE_PGM_RSRC2:TRAP_HANDLER: 0
; COMPUTE_PGM_RSRC2:TGID_X_EN: 1
; COMPUTE_PGM_RSRC2:TGID_Y_EN: 0
; COMPUTE_PGM_RSRC2:TGID_Z_EN: 0
; COMPUTE_PGM_RSRC2:TIDIG_COMP_CNT: 0
; COMPUTE_PGM_RSRC3_GFX90A:ACCUM_OFFSET: 8
; COMPUTE_PGM_RSRC3_GFX90A:TG_SPLIT: 0
	.section	.text._ZN5aiter22opus_moe_sorting_entryINS_29MoeSortingMultiPhaseKernel_P1INS_19MoeSortingProblemMpIifhLi16ELb0ELb1ELb1EEEEENS4_5KargsEEEvT0_,"axG",@progbits,_ZN5aiter22opus_moe_sorting_entryINS_29MoeSortingMultiPhaseKernel_P1INS_19MoeSortingProblemMpIifhLi16ELb0ELb1ELb1EEEEENS4_5KargsEEEvT0_,comdat
	.protected	_ZN5aiter22opus_moe_sorting_entryINS_29MoeSortingMultiPhaseKernel_P1INS_19MoeSortingProblemMpIifhLi16ELb0ELb1ELb1EEEEENS4_5KargsEEEvT0_ ; -- Begin function _ZN5aiter22opus_moe_sorting_entryINS_29MoeSortingMultiPhaseKernel_P1INS_19MoeSortingProblemMpIifhLi16ELb0ELb1ELb1EEEEENS4_5KargsEEEvT0_
	.globl	_ZN5aiter22opus_moe_sorting_entryINS_29MoeSortingMultiPhaseKernel_P1INS_19MoeSortingProblemMpIifhLi16ELb0ELb1ELb1EEEEENS4_5KargsEEEvT0_
	.p2align	8
	.type	_ZN5aiter22opus_moe_sorting_entryINS_29MoeSortingMultiPhaseKernel_P1INS_19MoeSortingProblemMpIifhLi16ELb0ELb1ELb1EEEEENS4_5KargsEEEvT0_,@function
_ZN5aiter22opus_moe_sorting_entryINS_29MoeSortingMultiPhaseKernel_P1INS_19MoeSortingProblemMpIifhLi16ELb0ELb1ELb1EEEEENS4_5KargsEEEvT0_: ; @_ZN5aiter22opus_moe_sorting_entryINS_29MoeSortingMultiPhaseKernel_P1INS_19MoeSortingProblemMpIifhLi16ELb0ELb1ELb1EEEEENS4_5KargsEEEvT0_
; %bb.0:
	s_load_dwordx4 s[0:3], s[4:5], 0x8
	s_load_dwordx2 s[8:9], s[4:5], 0x18
	s_mov_b32 s5, 0
	s_waitcnt lgkmcnt(0)
	s_load_dword s4, s[0:1], 0x0
	s_waitcnt lgkmcnt(0)
	s_cmp_gt_i32 s4, 0
	s_cbranch_scc1 .LBB60_2
; %bb.1:
	v_mov_b32_e32 v1, s5
	s_cbranch_execz .LBB60_3
	s_branch .LBB60_7
.LBB60_2:
                                        ; implicit-def: $sgpr5
	v_mov_b32_e32 v1, s5
.LBB60_3:
	s_add_i32 s0, s4, 31
	s_ashr_i32 s1, s0, 31
	s_lshr_b32 s1, s1, 27
	s_add_i32 s0, s0, s1
	s_ashr_i32 s0, s0, 5
	s_lshl_b32 s4, s0, 1
	s_mul_i32 s1, s6, s0
	s_add_i32 s0, s4, 0xff
	s_lshl_b32 s1, s1, 5
	s_lshr_b32 s0, s0, 8
	v_mbcnt_lo_u32_b32 v1, -1, 0
	s_ashr_i32 s10, s1, 31
	v_mbcnt_hi_u32_b32 v1, -1, v1
	s_max_u32 s7, s0, 1
	v_lshlrev_b32_e32 v1, 2, v1
	s_add_u32 s0, s2, s1
	v_xor_b32_e32 v9, 4, v1
	v_xor_b32_e32 v10, 8, v1
	;; [unrolled: 1-line block ×6, first 2 shown]
	v_lshlrev_b32_e32 v1, 4, v0
	s_addc_u32 s1, s3, s10
	v_mov_b32_e32 v2, s1
	v_add_co_u32_e32 v6, vcc, s0, v1
	s_movk_i32 s5, 0xff
	v_mov_b32_e32 v8, 0
	v_addc_co_u32_e32 v7, vcc, 0, v2, vcc
	v_mov_b32_e32 v15, v0
	v_mov_b32_e32 v1, 0
	s_branch .LBB60_5
.LBB60_4:                               ;   in Loop: Header=BB60_5 Depth=1
	s_or_b64 exec, exec, s[0:1]
	s_waitcnt vmcnt(0)
	v_lshrrev_b32_e32 v18, 8, v2
	v_cmp_ne_u16_sdwa s[0:1], v18, v8 src0_sel:BYTE_0 src1_sel:DWORD
	v_cndmask_b32_e64 v18, 0, 1, s[0:1]
	v_cmp_ne_u16_sdwa vcc, v2, v8 src0_sel:BYTE_0 src1_sel:DWORD
	v_addc_co_u32_e32 v18, vcc, 0, v18, vcc
	v_and_b32_sdwa v19, v2, s5 dst_sel:DWORD dst_unused:UNUSED_PAD src0_sel:WORD_1 src1_sel:DWORD
	v_cmp_ne_u16_e32 vcc, 0, v19
	v_cndmask_b32_e64 v19, 0, 1, vcc
	v_cmp_ne_u16_sdwa vcc, v2, v8 src0_sel:BYTE_3 src1_sel:DWORD
	v_lshrrev_b32_e32 v16, 8, v3
	v_addc_co_u32_e32 v2, vcc, v18, v19, vcc
	v_cmp_ne_u16_sdwa s[0:1], v3, v8 src0_sel:BYTE_0 src1_sel:DWORD
	v_cndmask_b32_e64 v18, 0, 1, s[0:1]
	v_cmp_ne_u16_sdwa vcc, v16, v8 src0_sel:BYTE_0 src1_sel:DWORD
	v_addc_co_u32_e32 v2, vcc, v2, v18, vcc
	v_and_b32_sdwa v16, v3, s5 dst_sel:DWORD dst_unused:UNUSED_PAD src0_sel:WORD_1 src1_sel:DWORD
	v_cmp_ne_u16_e32 vcc, 0, v16
	v_cndmask_b32_e64 v16, 0, 1, vcc
	v_cmp_ne_u16_sdwa vcc, v3, v8 src0_sel:BYTE_3 src1_sel:DWORD
	v_addc_co_u32_e32 v2, vcc, v2, v16, vcc
	v_cmp_ne_u16_sdwa s[0:1], v4, v8 src0_sel:BYTE_0 src1_sel:DWORD
	v_lshrrev_b32_e32 v16, 8, v4
	v_cndmask_b32_e64 v3, 0, 1, s[0:1]
	v_cmp_ne_u16_sdwa vcc, v16, v8 src0_sel:BYTE_0 src1_sel:DWORD
	v_addc_co_u32_e32 v2, vcc, v2, v3, vcc
	v_and_b32_sdwa v3, v4, s5 dst_sel:DWORD dst_unused:UNUSED_PAD src0_sel:WORD_1 src1_sel:DWORD
	v_cmp_ne_u16_e32 vcc, 0, v3
	v_cndmask_b32_e64 v3, 0, 1, vcc
	v_cmp_ne_u16_sdwa vcc, v4, v8 src0_sel:BYTE_3 src1_sel:DWORD
	v_lshrrev_b32_e32 v17, 8, v5
	v_addc_co_u32_e32 v2, vcc, v2, v3, vcc
	v_cmp_ne_u16_sdwa s[0:1], v5, v8 src0_sel:BYTE_0 src1_sel:DWORD
	v_cndmask_b32_e64 v3, 0, 1, s[0:1]
	v_cmp_ne_u16_sdwa vcc, v17, v8 src0_sel:BYTE_0 src1_sel:DWORD
	v_addc_co_u32_e32 v2, vcc, v2, v3, vcc
	v_and_b32_sdwa v3, v5, s5 dst_sel:DWORD dst_unused:UNUSED_PAD src0_sel:WORD_1 src1_sel:DWORD
	v_cmp_ne_u16_e32 vcc, 0, v3
	v_cndmask_b32_e64 v3, 0, 1, vcc
	v_cmp_ne_u16_sdwa vcc, v5, v8 src0_sel:BYTE_3 src1_sel:DWORD
	v_addc_co_u32_e32 v2, vcc, v2, v3, vcc
	ds_bpermute_b32 v3, v9, v2
	s_add_i32 s7, s7, -1
	v_add_co_u32_e32 v6, vcc, 0x1000, v6
	v_addc_co_u32_e32 v7, vcc, 0, v7, vcc
	s_waitcnt lgkmcnt(0)
	v_add_u32_e32 v2, v2, v3
	ds_bpermute_b32 v3, v10, v2
	s_cmp_eq_u32 s7, 0
	v_add_u32_e32 v15, 0x100, v15
	s_waitcnt lgkmcnt(0)
	v_add_u32_e32 v2, v2, v3
	ds_bpermute_b32 v3, v11, v2
	s_waitcnt lgkmcnt(0)
	v_add_u32_e32 v2, v2, v3
	ds_bpermute_b32 v3, v12, v2
	;; [unrolled: 3-line block ×4, first 2 shown]
	s_waitcnt lgkmcnt(0)
	v_add3_u32 v1, v3, v1, v2
	s_cbranch_scc1 .LBB60_7
.LBB60_5:                               ; =>This Inner Loop Header: Depth=1
	v_cmp_gt_i32_e32 vcc, s4, v15
	v_mov_b32_e32 v2, 0
	v_mov_b32_e32 v3, 0
	;; [unrolled: 1-line block ×4, first 2 shown]
	s_and_saveexec_b64 s[0:1], vcc
	s_cbranch_execz .LBB60_4
; %bb.6:                                ;   in Loop: Header=BB60_5 Depth=1
	global_load_dwordx4 v[2:5], v[6:7], off
	s_branch .LBB60_4
.LBB60_7:
	v_and_b32_e32 v2, 63, v0
	v_cmp_eq_u32_e32 vcc, 0, v2
	s_and_saveexec_b64 s[0:1], vcc
	s_cbranch_execz .LBB60_9
; %bb.8:
	v_lshrrev_b32_e32 v2, 4, v0
	ds_write_b32 v2, v1
.LBB60_9:
	s_or_b64 exec, exec, s[0:1]
	v_cmp_eq_u32_e32 vcc, 0, v0
	s_waitcnt lgkmcnt(0)
	s_barrier
	s_and_saveexec_b64 s[0:1], vcc
	s_cbranch_execz .LBB60_11
; %bb.10:
	v_mov_b32_e32 v4, 0
	ds_read_b128 v[0:3], v4
	s_ashr_i32 s7, s6, 31
	s_lshl_b64 s[0:1], s[6:7], 2
	s_add_u32 s0, s8, s0
	s_addc_u32 s1, s9, s1
	s_waitcnt lgkmcnt(0)
	v_add_u32_e32 v0, v1, v0
	v_add_u32_e32 v0, v0, v2
	;; [unrolled: 1-line block ×3, first 2 shown]
	global_store_dword v4, v0, s[0:1]
.LBB60_11:
	s_endpgm
	.section	.rodata,"a",@progbits
	.p2align	6, 0x0
	.amdhsa_kernel _ZN5aiter22opus_moe_sorting_entryINS_29MoeSortingMultiPhaseKernel_P1INS_19MoeSortingProblemMpIifhLi16ELb0ELb1ELb1EEEEENS4_5KargsEEEvT0_
		.amdhsa_group_segment_fixed_size 16
		.amdhsa_private_segment_fixed_size 0
		.amdhsa_kernarg_size 40
		.amdhsa_user_sgpr_count 6
		.amdhsa_user_sgpr_private_segment_buffer 1
		.amdhsa_user_sgpr_dispatch_ptr 0
		.amdhsa_user_sgpr_queue_ptr 0
		.amdhsa_user_sgpr_kernarg_segment_ptr 1
		.amdhsa_user_sgpr_dispatch_id 0
		.amdhsa_user_sgpr_flat_scratch_init 0
		.amdhsa_user_sgpr_kernarg_preload_length 0
		.amdhsa_user_sgpr_kernarg_preload_offset 0
		.amdhsa_user_sgpr_private_segment_size 0
		.amdhsa_uses_dynamic_stack 0
		.amdhsa_system_sgpr_private_segment_wavefront_offset 0
		.amdhsa_system_sgpr_workgroup_id_x 1
		.amdhsa_system_sgpr_workgroup_id_y 0
		.amdhsa_system_sgpr_workgroup_id_z 0
		.amdhsa_system_sgpr_workgroup_info 0
		.amdhsa_system_vgpr_workitem_id 0
		.amdhsa_next_free_vgpr 20
		.amdhsa_next_free_sgpr 11
		.amdhsa_accum_offset 20
		.amdhsa_reserve_vcc 1
		.amdhsa_reserve_flat_scratch 0
		.amdhsa_float_round_mode_32 0
		.amdhsa_float_round_mode_16_64 0
		.amdhsa_float_denorm_mode_32 3
		.amdhsa_float_denorm_mode_16_64 3
		.amdhsa_dx10_clamp 1
		.amdhsa_ieee_mode 1
		.amdhsa_fp16_overflow 0
		.amdhsa_tg_split 0
		.amdhsa_exception_fp_ieee_invalid_op 0
		.amdhsa_exception_fp_denorm_src 0
		.amdhsa_exception_fp_ieee_div_zero 0
		.amdhsa_exception_fp_ieee_overflow 0
		.amdhsa_exception_fp_ieee_underflow 0
		.amdhsa_exception_fp_ieee_inexact 0
		.amdhsa_exception_int_div_zero 0
	.end_amdhsa_kernel
	.section	.text._ZN5aiter22opus_moe_sorting_entryINS_29MoeSortingMultiPhaseKernel_P1INS_19MoeSortingProblemMpIifhLi16ELb0ELb1ELb1EEEEENS4_5KargsEEEvT0_,"axG",@progbits,_ZN5aiter22opus_moe_sorting_entryINS_29MoeSortingMultiPhaseKernel_P1INS_19MoeSortingProblemMpIifhLi16ELb0ELb1ELb1EEEEENS4_5KargsEEEvT0_,comdat
.Lfunc_end60:
	.size	_ZN5aiter22opus_moe_sorting_entryINS_29MoeSortingMultiPhaseKernel_P1INS_19MoeSortingProblemMpIifhLi16ELb0ELb1ELb1EEEEENS4_5KargsEEEvT0_, .Lfunc_end60-_ZN5aiter22opus_moe_sorting_entryINS_29MoeSortingMultiPhaseKernel_P1INS_19MoeSortingProblemMpIifhLi16ELb0ELb1ELb1EEEEENS4_5KargsEEEvT0_
                                        ; -- End function
	.section	.AMDGPU.csdata,"",@progbits
; Kernel info:
; codeLenInByte = 748
; NumSgprs: 15
; NumVgprs: 20
; NumAgprs: 0
; TotalNumVgprs: 20
; ScratchSize: 0
; MemoryBound: 0
; FloatMode: 240
; IeeeMode: 1
; LDSByteSize: 16 bytes/workgroup (compile time only)
; SGPRBlocks: 1
; VGPRBlocks: 2
; NumSGPRsForWavesPerEU: 15
; NumVGPRsForWavesPerEU: 20
; AccumOffset: 20
; Occupancy: 8
; WaveLimiterHint : 0
; COMPUTE_PGM_RSRC2:SCRATCH_EN: 0
; COMPUTE_PGM_RSRC2:USER_SGPR: 6
; COMPUTE_PGM_RSRC2:TRAP_HANDLER: 0
; COMPUTE_PGM_RSRC2:TGID_X_EN: 1
; COMPUTE_PGM_RSRC2:TGID_Y_EN: 0
; COMPUTE_PGM_RSRC2:TGID_Z_EN: 0
; COMPUTE_PGM_RSRC2:TIDIG_COMP_CNT: 0
; COMPUTE_PGM_RSRC3_GFX90A:ACCUM_OFFSET: 4
; COMPUTE_PGM_RSRC3_GFX90A:TG_SPLIT: 0
	.section	.text._ZN5aiter22opus_moe_sorting_entryINS_32MoeSortingMultiPhaseKernel_P0_v1INS_19MoeSortingProblemMpIifhLi4ELb0ELb0ELb1EEEEENS4_5KargsEEEvT0_,"axG",@progbits,_ZN5aiter22opus_moe_sorting_entryINS_32MoeSortingMultiPhaseKernel_P0_v1INS_19MoeSortingProblemMpIifhLi4ELb0ELb0ELb1EEEEENS4_5KargsEEEvT0_,comdat
	.protected	_ZN5aiter22opus_moe_sorting_entryINS_32MoeSortingMultiPhaseKernel_P0_v1INS_19MoeSortingProblemMpIifhLi4ELb0ELb0ELb1EEEEENS4_5KargsEEEvT0_ ; -- Begin function _ZN5aiter22opus_moe_sorting_entryINS_32MoeSortingMultiPhaseKernel_P0_v1INS_19MoeSortingProblemMpIifhLi4ELb0ELb0ELb1EEEEENS4_5KargsEEEvT0_
	.globl	_ZN5aiter22opus_moe_sorting_entryINS_32MoeSortingMultiPhaseKernel_P0_v1INS_19MoeSortingProblemMpIifhLi4ELb0ELb0ELb1EEEEENS4_5KargsEEEvT0_
	.p2align	8
	.type	_ZN5aiter22opus_moe_sorting_entryINS_32MoeSortingMultiPhaseKernel_P0_v1INS_19MoeSortingProblemMpIifhLi4ELb0ELb0ELb1EEEEENS4_5KargsEEEvT0_,@function
_ZN5aiter22opus_moe_sorting_entryINS_32MoeSortingMultiPhaseKernel_P0_v1INS_19MoeSortingProblemMpIifhLi4ELb0ELb0ELb1EEEEENS4_5KargsEEEvT0_: ; @_ZN5aiter22opus_moe_sorting_entryINS_32MoeSortingMultiPhaseKernel_P0_v1INS_19MoeSortingProblemMpIifhLi4ELb0ELb0ELb1EEEEENS4_5KargsEEEvT0_
; %bb.0:
	s_load_dwordx4 s[0:3], s[4:5], 0x18
	s_lshl_b32 s7, s6, 8
	v_add_u32_e32 v4, s7, v0
	s_waitcnt lgkmcnt(0)
	s_mul_i32 s0, s3, s0
	s_lshr_b32 s0, s0, 2
	v_cmp_gt_i32_e32 vcc, s0, v4
	s_and_saveexec_b64 s[8:9], vcc
	s_cbranch_execz .LBB61_41
; %bb.1:
	s_load_dword s34, s[4:5], 0x30
	s_load_dwordx2 s[8:9], s[4:5], 0x0
	s_load_dwordx2 s[10:11], s[4:5], 0x10
	;; [unrolled: 1-line block ×3, first 2 shown]
	s_lshl_b32 s4, s6, 10
	s_waitcnt lgkmcnt(0)
	s_lshl_b32 s23, s34, 10
	v_lshlrev_b32_e32 v1, 2, v0
	s_add_i32 s5, s4, s23
	s_lshl_b32 s27, s34, 11
	s_lshl_b32 s21, s34, 8
	;; [unrolled: 1-line block ×3, first 2 shown]
	v_add_u32_e32 v12, s5, v1
	s_add_i32 s5, s27, s4
	s_lshl_b32 s28, s34, 9
	s_mul_i32 s33, s34, 0xc00
	s_mulk_i32 s34, 0x300
	v_add_u32_e32 v8, s4, v1
	v_add_u32_e32 v17, s5, v1
	s_add_i32 s5, s7, s28
	s_add_i32 s7, s7, s34
	v_or_b32_e32 v9, 1, v8
	v_or_b32_e32 v10, 2, v8
	;; [unrolled: 1-line block ×3, first 2 shown]
	v_add_lshl_u32 v13, v4, s21, 2
	v_add_lshl_u32 v18, s5, v0, 2
	s_add_i32 s4, s33, s4
	v_add_lshl_u32 v23, s7, v0, 2
	s_mov_b32 s20, 0
	s_sub_i32 s3, 0, s3
	s_or_b32 s24, s23, 1
	v_or_b32_e32 v14, 1, v13
	s_or_b32 s25, s23, 2
	v_or_b32_e32 v15, 2, v13
	s_or_b32 s26, s23, 3
	v_or_b32_e32 v16, 3, v13
	s_or_b32 s29, s27, 1
	v_or_b32_e32 v19, 1, v18
	s_or_b32 s30, s27, 2
	v_or_b32_e32 v20, 2, v18
	s_or_b32 s31, s27, 3
	v_or_b32_e32 v21, 3, v18
	v_add_u32_e32 v22, s4, v1
	s_or_b32 s35, s33, 1
	v_or_b32_e32 v24, 1, v23
	s_or_b32 s36, s33, 2
	v_or_b32_e32 v25, 2, v23
	;; [unrolled: 2-line block ×3, first 2 shown]
	s_mov_b64 s[4:5], 0
	v_mov_b32_e32 v27, s9
	v_mov_b32_e32 v28, v11
	;; [unrolled: 1-line block ×5, first 2 shown]
	s_branch .LBB61_6
.LBB61_2:                               ;   in Loop: Header=BB61_6 Depth=1
	s_or_b64 exec, exec, s[18:19]
	s_add_i32 s18, s21, s21
	s_add_i32 s18, s18, s21
	v_add_u32_e32 v4, s18, v6
	v_cmp_le_i32_e32 vcc, s0, v4
	s_add_i32 s20, s20, s22
	v_add_u32_e32 v31, s22, v31
	v_add_u32_e32 v30, s22, v30
	;; [unrolled: 1-line block ×16, first 2 shown]
	s_orn2_b64 s[18:19], vcc, exec
.LBB61_3:                               ;   in Loop: Header=BB61_6 Depth=1
	s_or_b64 exec, exec, s[16:17]
	s_orn2_b64 s[16:17], s[18:19], exec
.LBB61_4:                               ;   in Loop: Header=BB61_6 Depth=1
	s_or_b64 exec, exec, s[14:15]
	s_orn2_b64 s[14:15], s[16:17], exec
.LBB61_5:                               ;   in Loop: Header=BB61_6 Depth=1
	s_or_b64 exec, exec, s[6:7]
	s_and_b64 s[6:7], exec, s[14:15]
	s_or_b64 s[4:5], s[6:7], s[4:5]
	s_andn2_b64 exec, exec, s[4:5]
	s_cbranch_execz .LBB61_41
.LBB61_6:                               ; =>This Inner Loop Header: Depth=1
	v_ashrrev_i32_e32 v5, 31, v4
	v_lshlrev_b64 v[0:1], 4, v[4:5]
	v_add_co_u32_e32 v0, vcc, s8, v0
	v_addc_co_u32_e32 v1, vcc, v27, v1, vcc
	global_load_dwordx4 v[0:3], v[0:1], off
	s_waitcnt vmcnt(0)
	v_cmp_gt_i32_e32 vcc, s1, v0
	s_and_saveexec_b64 s[6:7], vcc
	s_cbranch_execnz .LBB61_28
; %bb.7:                                ;   in Loop: Header=BB61_6 Depth=1
	s_or_b64 exec, exec, s[6:7]
	v_cmp_gt_i32_e32 vcc, s1, v1
	s_and_saveexec_b64 s[6:7], vcc
	s_cbranch_execnz .LBB61_29
.LBB61_8:                               ;   in Loop: Header=BB61_6 Depth=1
	s_or_b64 exec, exec, s[6:7]
	v_cmp_gt_i32_e32 vcc, s1, v2
	s_and_saveexec_b64 s[6:7], vcc
	s_cbranch_execnz .LBB61_30
.LBB61_9:                               ;   in Loop: Header=BB61_6 Depth=1
	s_or_b64 exec, exec, s[6:7]
	v_cmp_gt_i32_e32 vcc, s1, v3
	s_and_saveexec_b64 s[6:7], vcc
	s_cbranch_execz .LBB61_11
.LBB61_10:                              ;   in Loop: Header=BB61_6 Depth=1
	v_mul_hi_u32 v0, s12, v28
	v_add3_u32 v0, v11, v0, s20
	v_lshrrev_b32_e32 v0, s13, v0
	v_mul_lo_u32 v1, s3, v0
	v_add3_u32 v1, v8, s20, v1
	v_add_u16_e32 v2, 4, v1
	v_mad_u64_u32 v[0:1], s[14:15], v3, s2, v[0:1]
	global_store_byte v0, v2, s[10:11]
.LBB61_11:                              ;   in Loop: Header=BB61_6 Depth=1
	s_or_b64 exec, exec, s[6:7]
	v_add_u32_e32 v6, s21, v4
	v_cmp_gt_i32_e32 vcc, s0, v6
	s_mov_b64 s[14:15], -1
	s_and_saveexec_b64 s[6:7], vcc
	s_cbranch_execz .LBB61_5
; %bb.12:                               ;   in Loop: Header=BB61_6 Depth=1
	v_ashrrev_i32_e32 v7, 31, v6
	v_lshlrev_b64 v[0:1], 4, v[6:7]
	v_mov_b32_e32 v2, s9
	v_add_co_u32_e32 v0, vcc, s8, v0
	v_addc_co_u32_e32 v1, vcc, v2, v1, vcc
	global_load_dwordx4 v[0:3], v[0:1], off
	s_waitcnt vmcnt(0)
	v_cmp_gt_i32_e32 vcc, s1, v0
	s_and_saveexec_b64 s[14:15], vcc
	s_cbranch_execnz .LBB61_31
; %bb.13:                               ;   in Loop: Header=BB61_6 Depth=1
	s_or_b64 exec, exec, s[14:15]
	v_cmp_gt_i32_e32 vcc, s1, v1
	s_and_saveexec_b64 s[14:15], vcc
	s_cbranch_execnz .LBB61_32
.LBB61_14:                              ;   in Loop: Header=BB61_6 Depth=1
	s_or_b64 exec, exec, s[14:15]
	v_cmp_gt_i32_e32 vcc, s1, v2
	s_and_saveexec_b64 s[14:15], vcc
	s_cbranch_execnz .LBB61_33
.LBB61_15:                              ;   in Loop: Header=BB61_6 Depth=1
	s_or_b64 exec, exec, s[14:15]
	v_cmp_gt_i32_e32 vcc, s1, v3
	s_and_saveexec_b64 s[14:15], vcc
	s_cbranch_execz .LBB61_17
.LBB61_16:                              ;   in Loop: Header=BB61_6 Depth=1
	v_mul_hi_u32 v0, s12, v16
	v_add_u32_e32 v0, s26, v0
	v_add3_u32 v0, v8, s20, v0
	v_lshrrev_b32_e32 v0, s13, v0
	v_mul_lo_u32 v1, s3, v0
	v_add3_u32 v1, v12, s20, v1
	v_add_u16_e32 v2, 4, v1
	v_mad_u64_u32 v[0:1], s[16:17], v3, s2, v[0:1]
	global_store_byte v0, v2, s[10:11]
.LBB61_17:                              ;   in Loop: Header=BB61_6 Depth=1
	s_or_b64 exec, exec, s[14:15]
	v_add_u32_e32 v0, s28, v4
	v_cmp_gt_i32_e32 vcc, s0, v0
	s_mov_b64 s[16:17], -1
	s_and_saveexec_b64 s[14:15], vcc
	s_cbranch_execz .LBB61_4
; %bb.18:                               ;   in Loop: Header=BB61_6 Depth=1
	v_ashrrev_i32_e32 v1, 31, v0
	v_lshlrev_b64 v[0:1], 4, v[0:1]
	v_mov_b32_e32 v2, s9
	v_add_co_u32_e32 v0, vcc, s8, v0
	v_addc_co_u32_e32 v1, vcc, v2, v1, vcc
	global_load_dwordx4 v[0:3], v[0:1], off
	s_waitcnt vmcnt(0)
	v_cmp_gt_i32_e32 vcc, s1, v0
	s_and_saveexec_b64 s[16:17], vcc
	s_cbranch_execnz .LBB61_34
; %bb.19:                               ;   in Loop: Header=BB61_6 Depth=1
	s_or_b64 exec, exec, s[16:17]
	v_cmp_gt_i32_e32 vcc, s1, v1
	s_and_saveexec_b64 s[16:17], vcc
	s_cbranch_execnz .LBB61_35
.LBB61_20:                              ;   in Loop: Header=BB61_6 Depth=1
	s_or_b64 exec, exec, s[16:17]
	v_cmp_gt_i32_e32 vcc, s1, v2
	s_and_saveexec_b64 s[16:17], vcc
	s_cbranch_execnz .LBB61_36
.LBB61_21:                              ;   in Loop: Header=BB61_6 Depth=1
	s_or_b64 exec, exec, s[16:17]
	v_cmp_gt_i32_e32 vcc, s1, v3
	s_and_saveexec_b64 s[16:17], vcc
	s_cbranch_execz .LBB61_23
.LBB61_22:                              ;   in Loop: Header=BB61_6 Depth=1
	v_mul_hi_u32 v0, s12, v21
	v_add_u32_e32 v0, s31, v0
	v_add3_u32 v0, v8, s20, v0
	v_lshrrev_b32_e32 v0, s13, v0
	v_mul_lo_u32 v1, s3, v0
	v_add3_u32 v1, v17, s20, v1
	v_add_u16_e32 v2, 4, v1
	v_mad_u64_u32 v[0:1], s[18:19], v3, s2, v[0:1]
	global_store_byte v0, v2, s[10:11]
.LBB61_23:                              ;   in Loop: Header=BB61_6 Depth=1
	s_or_b64 exec, exec, s[16:17]
	v_add_u32_e32 v0, s34, v4
	v_cmp_gt_i32_e32 vcc, s0, v0
	s_mov_b64 s[18:19], -1
                                        ; implicit-def: $vgpr4
	s_and_saveexec_b64 s[16:17], vcc
	s_cbranch_execz .LBB61_3
; %bb.24:                               ;   in Loop: Header=BB61_6 Depth=1
	v_ashrrev_i32_e32 v1, 31, v0
	v_lshlrev_b64 v[0:1], 4, v[0:1]
	v_mov_b32_e32 v2, s9
	v_add_co_u32_e32 v0, vcc, s8, v0
	v_addc_co_u32_e32 v1, vcc, v2, v1, vcc
	global_load_dwordx4 v[0:3], v[0:1], off
	s_waitcnt vmcnt(0)
	v_cmp_gt_i32_e32 vcc, s1, v0
	s_and_saveexec_b64 s[18:19], vcc
	s_cbranch_execnz .LBB61_37
; %bb.25:                               ;   in Loop: Header=BB61_6 Depth=1
	s_or_b64 exec, exec, s[18:19]
	v_cmp_gt_i32_e32 vcc, s1, v1
	s_and_saveexec_b64 s[18:19], vcc
	s_cbranch_execnz .LBB61_38
.LBB61_26:                              ;   in Loop: Header=BB61_6 Depth=1
	s_or_b64 exec, exec, s[18:19]
	v_cmp_gt_i32_e32 vcc, s1, v2
	s_and_saveexec_b64 s[18:19], vcc
	s_cbranch_execnz .LBB61_39
.LBB61_27:                              ;   in Loop: Header=BB61_6 Depth=1
	s_or_b64 exec, exec, s[18:19]
	v_cmp_gt_i32_e32 vcc, s1, v3
	s_and_saveexec_b64 s[18:19], vcc
	s_cbranch_execz .LBB61_2
	s_branch .LBB61_40
.LBB61_28:                              ;   in Loop: Header=BB61_6 Depth=1
	v_mul_hi_u32 v5, s12, v31
	v_add_u32_e32 v6, s20, v8
	v_add_u32_e32 v5, v6, v5
	v_lshrrev_b32_e32 v32, s13, v5
	v_mad_u64_u32 v[6:7], s[14:15], s3, v32, v[6:7]
	v_add_u16_e32 v5, 1, v6
	v_mad_u64_u32 v[6:7], s[14:15], v0, s2, v[32:33]
	global_store_byte v6, v5, s[10:11]
	s_or_b64 exec, exec, s[6:7]
	v_cmp_gt_i32_e32 vcc, s1, v1
	s_and_saveexec_b64 s[6:7], vcc
	s_cbranch_execz .LBB61_8
.LBB61_29:                              ;   in Loop: Header=BB61_6 Depth=1
	v_mul_hi_u32 v0, s12, v30
	v_add3_u32 v0, v9, v0, s20
	v_lshrrev_b32_e32 v0, s13, v0
	v_mul_lo_u32 v5, s3, v0
	v_add3_u32 v5, v8, s20, v5
	v_add_u16_e32 v5, 2, v5
	v_mad_u64_u32 v[0:1], s[14:15], v1, s2, v[0:1]
	global_store_byte v0, v5, s[10:11]
	s_or_b64 exec, exec, s[6:7]
	v_cmp_gt_i32_e32 vcc, s1, v2
	s_and_saveexec_b64 s[6:7], vcc
	s_cbranch_execz .LBB61_9
.LBB61_30:                              ;   in Loop: Header=BB61_6 Depth=1
	v_mul_hi_u32 v0, s12, v29
	v_add3_u32 v0, v10, v0, s20
	v_lshrrev_b32_e32 v0, s13, v0
	v_mul_lo_u32 v1, s3, v0
	v_add3_u32 v1, v8, s20, v1
	v_add_u16_e32 v5, 3, v1
	v_mad_u64_u32 v[0:1], s[14:15], v2, s2, v[0:1]
	global_store_byte v0, v5, s[10:11]
	s_or_b64 exec, exec, s[6:7]
	v_cmp_gt_i32_e32 vcc, s1, v3
	s_and_saveexec_b64 s[6:7], vcc
	s_cbranch_execnz .LBB61_10
	s_branch .LBB61_11
.LBB61_31:                              ;   in Loop: Header=BB61_6 Depth=1
	v_mul_hi_u32 v5, s12, v13
	v_add_u32_e32 v5, s23, v5
	v_add3_u32 v5, v8, s20, v5
	v_lshrrev_b32_e32 v32, s13, v5
	v_mul_lo_u32 v5, s3, v32
	v_add3_u32 v5, v12, s20, v5
	v_add_u16_e32 v5, 1, v5
	v_mad_u64_u32 v[32:33], s[16:17], v0, s2, v[32:33]
	global_store_byte v32, v5, s[10:11]
	s_or_b64 exec, exec, s[14:15]
	v_cmp_gt_i32_e32 vcc, s1, v1
	s_and_saveexec_b64 s[14:15], vcc
	s_cbranch_execz .LBB61_14
.LBB61_32:                              ;   in Loop: Header=BB61_6 Depth=1
	v_mul_hi_u32 v0, s12, v14
	v_add_u32_e32 v0, s24, v0
	v_add3_u32 v0, v8, s20, v0
	v_lshrrev_b32_e32 v0, s13, v0
	v_mul_lo_u32 v5, s3, v0
	v_add3_u32 v5, v12, s20, v5
	v_add_u16_e32 v5, 2, v5
	v_mad_u64_u32 v[0:1], s[16:17], v1, s2, v[0:1]
	global_store_byte v0, v5, s[10:11]
	s_or_b64 exec, exec, s[14:15]
	v_cmp_gt_i32_e32 vcc, s1, v2
	s_and_saveexec_b64 s[14:15], vcc
	s_cbranch_execz .LBB61_15
.LBB61_33:                              ;   in Loop: Header=BB61_6 Depth=1
	v_mul_hi_u32 v0, s12, v15
	v_add_u32_e32 v0, s25, v0
	v_add3_u32 v0, v8, s20, v0
	v_lshrrev_b32_e32 v0, s13, v0
	v_mul_lo_u32 v1, s3, v0
	v_add3_u32 v1, v12, s20, v1
	v_add_u16_e32 v5, 3, v1
	v_mad_u64_u32 v[0:1], s[16:17], v2, s2, v[0:1]
	global_store_byte v0, v5, s[10:11]
	s_or_b64 exec, exec, s[14:15]
	v_cmp_gt_i32_e32 vcc, s1, v3
	s_and_saveexec_b64 s[14:15], vcc
	s_cbranch_execnz .LBB61_16
	s_branch .LBB61_17
.LBB61_34:                              ;   in Loop: Header=BB61_6 Depth=1
	v_mul_hi_u32 v5, s12, v18
	v_add_u32_e32 v5, s27, v5
	v_add3_u32 v5, v8, s20, v5
	v_lshrrev_b32_e32 v32, s13, v5
	v_mul_lo_u32 v5, s3, v32
	v_add3_u32 v5, v17, s20, v5
	v_add_u16_e32 v5, 1, v5
	v_mad_u64_u32 v[32:33], s[18:19], v0, s2, v[32:33]
	global_store_byte v32, v5, s[10:11]
	s_or_b64 exec, exec, s[16:17]
	v_cmp_gt_i32_e32 vcc, s1, v1
	s_and_saveexec_b64 s[16:17], vcc
	s_cbranch_execz .LBB61_20
.LBB61_35:                              ;   in Loop: Header=BB61_6 Depth=1
	v_mul_hi_u32 v0, s12, v19
	v_add_u32_e32 v0, s29, v0
	v_add3_u32 v0, v8, s20, v0
	v_lshrrev_b32_e32 v0, s13, v0
	v_mul_lo_u32 v5, s3, v0
	v_add3_u32 v5, v17, s20, v5
	v_add_u16_e32 v5, 2, v5
	v_mad_u64_u32 v[0:1], s[18:19], v1, s2, v[0:1]
	global_store_byte v0, v5, s[10:11]
	s_or_b64 exec, exec, s[16:17]
	v_cmp_gt_i32_e32 vcc, s1, v2
	s_and_saveexec_b64 s[16:17], vcc
	s_cbranch_execz .LBB61_21
.LBB61_36:                              ;   in Loop: Header=BB61_6 Depth=1
	v_mul_hi_u32 v0, s12, v20
	v_add_u32_e32 v0, s30, v0
	v_add3_u32 v0, v8, s20, v0
	v_lshrrev_b32_e32 v0, s13, v0
	v_mul_lo_u32 v1, s3, v0
	v_add3_u32 v1, v17, s20, v1
	v_add_u16_e32 v5, 3, v1
	v_mad_u64_u32 v[0:1], s[18:19], v2, s2, v[0:1]
	global_store_byte v0, v5, s[10:11]
	s_or_b64 exec, exec, s[16:17]
	v_cmp_gt_i32_e32 vcc, s1, v3
	s_and_saveexec_b64 s[16:17], vcc
	s_cbranch_execnz .LBB61_22
	s_branch .LBB61_23
.LBB61_37:                              ;   in Loop: Header=BB61_6 Depth=1
	v_mul_hi_u32 v4, s12, v23
	v_add_u32_e32 v4, s33, v4
	v_add3_u32 v4, v8, s20, v4
	v_lshrrev_b32_e32 v4, s13, v4
	v_mul_lo_u32 v5, s3, v4
	v_add3_u32 v5, v22, s20, v5
	v_add_u16_e32 v7, 1, v5
	v_mad_u64_u32 v[4:5], s[38:39], v0, s2, v[4:5]
	global_store_byte v4, v7, s[10:11]
	s_or_b64 exec, exec, s[18:19]
	v_cmp_gt_i32_e32 vcc, s1, v1
	s_and_saveexec_b64 s[18:19], vcc
	s_cbranch_execz .LBB61_26
.LBB61_38:                              ;   in Loop: Header=BB61_6 Depth=1
	v_mul_hi_u32 v0, s12, v24
	v_add_u32_e32 v0, s35, v0
	v_add3_u32 v0, v8, s20, v0
	v_lshrrev_b32_e32 v0, s13, v0
	v_mul_lo_u32 v4, s3, v0
	v_add3_u32 v4, v22, s20, v4
	v_add_u16_e32 v4, 2, v4
	v_mad_u64_u32 v[0:1], s[38:39], v1, s2, v[0:1]
	global_store_byte v0, v4, s[10:11]
	s_or_b64 exec, exec, s[18:19]
	v_cmp_gt_i32_e32 vcc, s1, v2
	s_and_saveexec_b64 s[18:19], vcc
	s_cbranch_execz .LBB61_27
.LBB61_39:                              ;   in Loop: Header=BB61_6 Depth=1
	v_mul_hi_u32 v0, s12, v25
	v_add_u32_e32 v0, s36, v0
	v_add3_u32 v0, v8, s20, v0
	v_lshrrev_b32_e32 v0, s13, v0
	v_mul_lo_u32 v1, s3, v0
	v_add3_u32 v1, v22, s20, v1
	v_add_u16_e32 v4, 3, v1
	v_mad_u64_u32 v[0:1], s[38:39], v2, s2, v[0:1]
	global_store_byte v0, v4, s[10:11]
	s_or_b64 exec, exec, s[18:19]
	v_cmp_gt_i32_e32 vcc, s1, v3
	s_and_saveexec_b64 s[18:19], vcc
	s_cbranch_execz .LBB61_2
.LBB61_40:                              ;   in Loop: Header=BB61_6 Depth=1
	v_mul_hi_u32 v0, s12, v26
	v_add_u32_e32 v0, s37, v0
	v_add3_u32 v0, v8, s20, v0
	v_lshrrev_b32_e32 v0, s13, v0
	v_mul_lo_u32 v1, s3, v0
	v_add3_u32 v1, v22, s20, v1
	v_add_u16_e32 v2, 4, v1
	v_mad_u64_u32 v[0:1], s[38:39], v3, s2, v[0:1]
	global_store_byte v0, v2, s[10:11]
	s_branch .LBB61_2
.LBB61_41:
	s_endpgm
	.section	.rodata,"a",@progbits
	.p2align	6, 0x0
	.amdhsa_kernel _ZN5aiter22opus_moe_sorting_entryINS_32MoeSortingMultiPhaseKernel_P0_v1INS_19MoeSortingProblemMpIifhLi4ELb0ELb0ELb1EEEEENS4_5KargsEEEvT0_
		.amdhsa_group_segment_fixed_size 0
		.amdhsa_private_segment_fixed_size 0
		.amdhsa_kernarg_size 304
		.amdhsa_user_sgpr_count 6
		.amdhsa_user_sgpr_private_segment_buffer 1
		.amdhsa_user_sgpr_dispatch_ptr 0
		.amdhsa_user_sgpr_queue_ptr 0
		.amdhsa_user_sgpr_kernarg_segment_ptr 1
		.amdhsa_user_sgpr_dispatch_id 0
		.amdhsa_user_sgpr_flat_scratch_init 0
		.amdhsa_user_sgpr_kernarg_preload_length 0
		.amdhsa_user_sgpr_kernarg_preload_offset 0
		.amdhsa_user_sgpr_private_segment_size 0
		.amdhsa_uses_dynamic_stack 0
		.amdhsa_system_sgpr_private_segment_wavefront_offset 0
		.amdhsa_system_sgpr_workgroup_id_x 1
		.amdhsa_system_sgpr_workgroup_id_y 0
		.amdhsa_system_sgpr_workgroup_id_z 0
		.amdhsa_system_sgpr_workgroup_info 0
		.amdhsa_system_vgpr_workitem_id 0
		.amdhsa_next_free_vgpr 34
		.amdhsa_next_free_sgpr 40
		.amdhsa_accum_offset 36
		.amdhsa_reserve_vcc 1
		.amdhsa_reserve_flat_scratch 0
		.amdhsa_float_round_mode_32 0
		.amdhsa_float_round_mode_16_64 0
		.amdhsa_float_denorm_mode_32 3
		.amdhsa_float_denorm_mode_16_64 3
		.amdhsa_dx10_clamp 1
		.amdhsa_ieee_mode 1
		.amdhsa_fp16_overflow 0
		.amdhsa_tg_split 0
		.amdhsa_exception_fp_ieee_invalid_op 0
		.amdhsa_exception_fp_denorm_src 0
		.amdhsa_exception_fp_ieee_div_zero 0
		.amdhsa_exception_fp_ieee_overflow 0
		.amdhsa_exception_fp_ieee_underflow 0
		.amdhsa_exception_fp_ieee_inexact 0
		.amdhsa_exception_int_div_zero 0
	.end_amdhsa_kernel
	.section	.text._ZN5aiter22opus_moe_sorting_entryINS_32MoeSortingMultiPhaseKernel_P0_v1INS_19MoeSortingProblemMpIifhLi4ELb0ELb0ELb1EEEEENS4_5KargsEEEvT0_,"axG",@progbits,_ZN5aiter22opus_moe_sorting_entryINS_32MoeSortingMultiPhaseKernel_P0_v1INS_19MoeSortingProblemMpIifhLi4ELb0ELb0ELb1EEEEENS4_5KargsEEEvT0_,comdat
.Lfunc_end61:
	.size	_ZN5aiter22opus_moe_sorting_entryINS_32MoeSortingMultiPhaseKernel_P0_v1INS_19MoeSortingProblemMpIifhLi4ELb0ELb0ELb1EEEEENS4_5KargsEEEvT0_, .Lfunc_end61-_ZN5aiter22opus_moe_sorting_entryINS_32MoeSortingMultiPhaseKernel_P0_v1INS_19MoeSortingProblemMpIifhLi4ELb0ELb0ELb1EEEEENS4_5KargsEEEvT0_
                                        ; -- End function
	.section	.AMDGPU.csdata,"",@progbits
; Kernel info:
; codeLenInByte = 2028
; NumSgprs: 44
; NumVgprs: 34
; NumAgprs: 0
; TotalNumVgprs: 34
; ScratchSize: 0
; MemoryBound: 0
; FloatMode: 240
; IeeeMode: 1
; LDSByteSize: 0 bytes/workgroup (compile time only)
; SGPRBlocks: 5
; VGPRBlocks: 4
; NumSGPRsForWavesPerEU: 44
; NumVGPRsForWavesPerEU: 34
; AccumOffset: 36
; Occupancy: 8
; WaveLimiterHint : 1
; COMPUTE_PGM_RSRC2:SCRATCH_EN: 0
; COMPUTE_PGM_RSRC2:USER_SGPR: 6
; COMPUTE_PGM_RSRC2:TRAP_HANDLER: 0
; COMPUTE_PGM_RSRC2:TGID_X_EN: 1
; COMPUTE_PGM_RSRC2:TGID_Y_EN: 0
; COMPUTE_PGM_RSRC2:TGID_Z_EN: 0
; COMPUTE_PGM_RSRC2:TIDIG_COMP_CNT: 0
; COMPUTE_PGM_RSRC3_GFX90A:ACCUM_OFFSET: 8
; COMPUTE_PGM_RSRC3_GFX90A:TG_SPLIT: 0
	.section	.text._ZN5aiter22opus_moe_sorting_entryINS_29MoeSortingMultiPhaseKernel_P1INS_19MoeSortingProblemMpIifhLi16ELb0ELb0ELb1EEEEENS4_5KargsEEEvT0_,"axG",@progbits,_ZN5aiter22opus_moe_sorting_entryINS_29MoeSortingMultiPhaseKernel_P1INS_19MoeSortingProblemMpIifhLi16ELb0ELb0ELb1EEEEENS4_5KargsEEEvT0_,comdat
	.protected	_ZN5aiter22opus_moe_sorting_entryINS_29MoeSortingMultiPhaseKernel_P1INS_19MoeSortingProblemMpIifhLi16ELb0ELb0ELb1EEEEENS4_5KargsEEEvT0_ ; -- Begin function _ZN5aiter22opus_moe_sorting_entryINS_29MoeSortingMultiPhaseKernel_P1INS_19MoeSortingProblemMpIifhLi16ELb0ELb0ELb1EEEEENS4_5KargsEEEvT0_
	.globl	_ZN5aiter22opus_moe_sorting_entryINS_29MoeSortingMultiPhaseKernel_P1INS_19MoeSortingProblemMpIifhLi16ELb0ELb0ELb1EEEEENS4_5KargsEEEvT0_
	.p2align	8
	.type	_ZN5aiter22opus_moe_sorting_entryINS_29MoeSortingMultiPhaseKernel_P1INS_19MoeSortingProblemMpIifhLi16ELb0ELb0ELb1EEEEENS4_5KargsEEEvT0_,@function
_ZN5aiter22opus_moe_sorting_entryINS_29MoeSortingMultiPhaseKernel_P1INS_19MoeSortingProblemMpIifhLi16ELb0ELb0ELb1EEEEENS4_5KargsEEEvT0_: ; @_ZN5aiter22opus_moe_sorting_entryINS_29MoeSortingMultiPhaseKernel_P1INS_19MoeSortingProblemMpIifhLi16ELb0ELb0ELb1EEEEENS4_5KargsEEEvT0_
; %bb.0:
	s_load_dword s7, s[4:5], 0x20
	s_waitcnt lgkmcnt(0)
	s_cmp_gt_i32 s7, 15
	s_cbranch_scc1 .LBB62_2
; %bb.1:
	s_mov_b32 s10, 0
	s_load_dwordx4 s[0:3], s[4:5], 0x10
	v_mov_b32_e32 v1, s10
	s_cbranch_execz .LBB62_3
	s_branch .LBB62_7
.LBB62_2:
                                        ; implicit-def: $sgpr10
	s_load_dwordx4 s[0:3], s[4:5], 0x10
	v_mov_b32_e32 v1, s10
.LBB62_3:
	s_ashr_i32 s4, s7, 31
	s_lshr_b32 s4, s4, 28
	s_mul_i32 s8, s7, s6
	s_add_i32 s7, s7, s4
	s_ashr_i32 s4, s7, 4
	s_add_i32 s7, s4, 0xff
	s_lshr_b32 s7, s7, 8
	v_mbcnt_lo_u32_b32 v1, -1, 0
	s_ashr_i32 s9, s8, 31
	v_mbcnt_hi_u32_b32 v1, -1, v1
	s_max_u32 s7, s7, 1
	v_lshlrev_b32_e32 v1, 2, v1
	s_waitcnt lgkmcnt(0)
	s_add_u32 s0, s0, s8
	v_xor_b32_e32 v9, 4, v1
	v_xor_b32_e32 v10, 8, v1
	;; [unrolled: 1-line block ×6, first 2 shown]
	v_lshlrev_b32_e32 v1, 4, v0
	s_addc_u32 s1, s1, s9
	v_mov_b32_e32 v2, s1
	v_add_co_u32_e32 v6, vcc, s0, v1
	s_movk_i32 s5, 0xff
	v_mov_b32_e32 v8, 0
	v_addc_co_u32_e32 v7, vcc, 0, v2, vcc
	v_mov_b32_e32 v15, v0
	v_mov_b32_e32 v1, 0
	s_branch .LBB62_5
.LBB62_4:                               ;   in Loop: Header=BB62_5 Depth=1
	s_or_b64 exec, exec, s[0:1]
	s_waitcnt vmcnt(0)
	v_lshrrev_b32_e32 v18, 8, v2
	v_cmp_ne_u16_sdwa s[0:1], v18, v8 src0_sel:BYTE_0 src1_sel:DWORD
	v_cndmask_b32_e64 v18, 0, 1, s[0:1]
	v_cmp_ne_u16_sdwa vcc, v2, v8 src0_sel:BYTE_0 src1_sel:DWORD
	v_addc_co_u32_e32 v18, vcc, 0, v18, vcc
	v_and_b32_sdwa v19, v2, s5 dst_sel:DWORD dst_unused:UNUSED_PAD src0_sel:WORD_1 src1_sel:DWORD
	v_cmp_ne_u16_e32 vcc, 0, v19
	v_cndmask_b32_e64 v19, 0, 1, vcc
	v_cmp_ne_u16_sdwa vcc, v2, v8 src0_sel:BYTE_3 src1_sel:DWORD
	v_lshrrev_b32_e32 v16, 8, v3
	v_addc_co_u32_e32 v2, vcc, v18, v19, vcc
	v_cmp_ne_u16_sdwa s[0:1], v3, v8 src0_sel:BYTE_0 src1_sel:DWORD
	v_cndmask_b32_e64 v18, 0, 1, s[0:1]
	v_cmp_ne_u16_sdwa vcc, v16, v8 src0_sel:BYTE_0 src1_sel:DWORD
	v_addc_co_u32_e32 v2, vcc, v2, v18, vcc
	v_and_b32_sdwa v16, v3, s5 dst_sel:DWORD dst_unused:UNUSED_PAD src0_sel:WORD_1 src1_sel:DWORD
	v_cmp_ne_u16_e32 vcc, 0, v16
	v_cndmask_b32_e64 v16, 0, 1, vcc
	v_cmp_ne_u16_sdwa vcc, v3, v8 src0_sel:BYTE_3 src1_sel:DWORD
	v_addc_co_u32_e32 v2, vcc, v2, v16, vcc
	v_cmp_ne_u16_sdwa s[0:1], v4, v8 src0_sel:BYTE_0 src1_sel:DWORD
	v_lshrrev_b32_e32 v16, 8, v4
	v_cndmask_b32_e64 v3, 0, 1, s[0:1]
	v_cmp_ne_u16_sdwa vcc, v16, v8 src0_sel:BYTE_0 src1_sel:DWORD
	v_addc_co_u32_e32 v2, vcc, v2, v3, vcc
	v_and_b32_sdwa v3, v4, s5 dst_sel:DWORD dst_unused:UNUSED_PAD src0_sel:WORD_1 src1_sel:DWORD
	v_cmp_ne_u16_e32 vcc, 0, v3
	v_cndmask_b32_e64 v3, 0, 1, vcc
	v_cmp_ne_u16_sdwa vcc, v4, v8 src0_sel:BYTE_3 src1_sel:DWORD
	v_lshrrev_b32_e32 v17, 8, v5
	v_addc_co_u32_e32 v2, vcc, v2, v3, vcc
	v_cmp_ne_u16_sdwa s[0:1], v5, v8 src0_sel:BYTE_0 src1_sel:DWORD
	v_cndmask_b32_e64 v3, 0, 1, s[0:1]
	v_cmp_ne_u16_sdwa vcc, v17, v8 src0_sel:BYTE_0 src1_sel:DWORD
	v_addc_co_u32_e32 v2, vcc, v2, v3, vcc
	v_and_b32_sdwa v3, v5, s5 dst_sel:DWORD dst_unused:UNUSED_PAD src0_sel:WORD_1 src1_sel:DWORD
	v_cmp_ne_u16_e32 vcc, 0, v3
	v_cndmask_b32_e64 v3, 0, 1, vcc
	v_cmp_ne_u16_sdwa vcc, v5, v8 src0_sel:BYTE_3 src1_sel:DWORD
	v_addc_co_u32_e32 v2, vcc, v2, v3, vcc
	ds_bpermute_b32 v3, v9, v2
	s_add_i32 s7, s7, -1
	v_add_co_u32_e32 v6, vcc, 0x1000, v6
	v_addc_co_u32_e32 v7, vcc, 0, v7, vcc
	s_waitcnt lgkmcnt(0)
	v_add_u32_e32 v2, v2, v3
	ds_bpermute_b32 v3, v10, v2
	s_cmp_eq_u32 s7, 0
	v_add_u32_e32 v15, 0x100, v15
	s_waitcnt lgkmcnt(0)
	v_add_u32_e32 v2, v2, v3
	ds_bpermute_b32 v3, v11, v2
	s_waitcnt lgkmcnt(0)
	v_add_u32_e32 v2, v2, v3
	ds_bpermute_b32 v3, v12, v2
	;; [unrolled: 3-line block ×4, first 2 shown]
	s_waitcnt lgkmcnt(0)
	v_add3_u32 v1, v3, v1, v2
	s_cbranch_scc1 .LBB62_7
.LBB62_5:                               ; =>This Inner Loop Header: Depth=1
	v_cmp_gt_i32_e32 vcc, s4, v15
	v_mov_b32_e32 v2, 0
	v_mov_b32_e32 v3, 0
	;; [unrolled: 1-line block ×4, first 2 shown]
	s_and_saveexec_b64 s[0:1], vcc
	s_cbranch_execz .LBB62_4
; %bb.6:                                ;   in Loop: Header=BB62_5 Depth=1
	global_load_dwordx4 v[2:5], v[6:7], off
	s_branch .LBB62_4
.LBB62_7:
	v_and_b32_e32 v2, 63, v0
	v_cmp_eq_u32_e32 vcc, 0, v2
	s_waitcnt lgkmcnt(0)
	s_and_saveexec_b64 s[0:1], vcc
	s_cbranch_execz .LBB62_9
; %bb.8:
	v_lshrrev_b32_e32 v2, 4, v0
	ds_write_b32 v2, v1
.LBB62_9:
	s_or_b64 exec, exec, s[0:1]
	v_cmp_eq_u32_e32 vcc, 0, v0
	s_waitcnt lgkmcnt(0)
	s_barrier
	s_and_saveexec_b64 s[0:1], vcc
	s_cbranch_execz .LBB62_11
; %bb.10:
	v_mov_b32_e32 v4, 0
	ds_read_b128 v[0:3], v4
	s_ashr_i32 s7, s6, 31
	s_lshl_b64 s[0:1], s[6:7], 2
	s_add_u32 s0, s2, s0
	s_addc_u32 s1, s3, s1
	s_waitcnt lgkmcnt(0)
	v_add_u32_e32 v0, v1, v0
	v_add_u32_e32 v0, v0, v2
	v_add_u32_e32 v0, v0, v3
	global_store_dword v4, v0, s[0:1]
.LBB62_11:
	s_endpgm
	.section	.rodata,"a",@progbits
	.p2align	6, 0x0
	.amdhsa_kernel _ZN5aiter22opus_moe_sorting_entryINS_29MoeSortingMultiPhaseKernel_P1INS_19MoeSortingProblemMpIifhLi16ELb0ELb0ELb1EEEEENS4_5KargsEEEvT0_
		.amdhsa_group_segment_fixed_size 16
		.amdhsa_private_segment_fixed_size 0
		.amdhsa_kernarg_size 40
		.amdhsa_user_sgpr_count 6
		.amdhsa_user_sgpr_private_segment_buffer 1
		.amdhsa_user_sgpr_dispatch_ptr 0
		.amdhsa_user_sgpr_queue_ptr 0
		.amdhsa_user_sgpr_kernarg_segment_ptr 1
		.amdhsa_user_sgpr_dispatch_id 0
		.amdhsa_user_sgpr_flat_scratch_init 0
		.amdhsa_user_sgpr_kernarg_preload_length 0
		.amdhsa_user_sgpr_kernarg_preload_offset 0
		.amdhsa_user_sgpr_private_segment_size 0
		.amdhsa_uses_dynamic_stack 0
		.amdhsa_system_sgpr_private_segment_wavefront_offset 0
		.amdhsa_system_sgpr_workgroup_id_x 1
		.amdhsa_system_sgpr_workgroup_id_y 0
		.amdhsa_system_sgpr_workgroup_id_z 0
		.amdhsa_system_sgpr_workgroup_info 0
		.amdhsa_system_vgpr_workitem_id 0
		.amdhsa_next_free_vgpr 20
		.amdhsa_next_free_sgpr 11
		.amdhsa_accum_offset 20
		.amdhsa_reserve_vcc 1
		.amdhsa_reserve_flat_scratch 0
		.amdhsa_float_round_mode_32 0
		.amdhsa_float_round_mode_16_64 0
		.amdhsa_float_denorm_mode_32 3
		.amdhsa_float_denorm_mode_16_64 3
		.amdhsa_dx10_clamp 1
		.amdhsa_ieee_mode 1
		.amdhsa_fp16_overflow 0
		.amdhsa_tg_split 0
		.amdhsa_exception_fp_ieee_invalid_op 0
		.amdhsa_exception_fp_denorm_src 0
		.amdhsa_exception_fp_ieee_div_zero 0
		.amdhsa_exception_fp_ieee_overflow 0
		.amdhsa_exception_fp_ieee_underflow 0
		.amdhsa_exception_fp_ieee_inexact 0
		.amdhsa_exception_int_div_zero 0
	.end_amdhsa_kernel
	.section	.text._ZN5aiter22opus_moe_sorting_entryINS_29MoeSortingMultiPhaseKernel_P1INS_19MoeSortingProblemMpIifhLi16ELb0ELb0ELb1EEEEENS4_5KargsEEEvT0_,"axG",@progbits,_ZN5aiter22opus_moe_sorting_entryINS_29MoeSortingMultiPhaseKernel_P1INS_19MoeSortingProblemMpIifhLi16ELb0ELb0ELb1EEEEENS4_5KargsEEEvT0_,comdat
.Lfunc_end62:
	.size	_ZN5aiter22opus_moe_sorting_entryINS_29MoeSortingMultiPhaseKernel_P1INS_19MoeSortingProblemMpIifhLi16ELb0ELb0ELb1EEEEENS4_5KargsEEEvT0_, .Lfunc_end62-_ZN5aiter22opus_moe_sorting_entryINS_29MoeSortingMultiPhaseKernel_P1INS_19MoeSortingProblemMpIifhLi16ELb0ELb0ELb1EEEEENS4_5KargsEEEvT0_
                                        ; -- End function
	.section	.AMDGPU.csdata,"",@progbits
; Kernel info:
; codeLenInByte = 740
; NumSgprs: 15
; NumVgprs: 20
; NumAgprs: 0
; TotalNumVgprs: 20
; ScratchSize: 0
; MemoryBound: 0
; FloatMode: 240
; IeeeMode: 1
; LDSByteSize: 16 bytes/workgroup (compile time only)
; SGPRBlocks: 1
; VGPRBlocks: 2
; NumSGPRsForWavesPerEU: 15
; NumVGPRsForWavesPerEU: 20
; AccumOffset: 20
; Occupancy: 8
; WaveLimiterHint : 0
; COMPUTE_PGM_RSRC2:SCRATCH_EN: 0
; COMPUTE_PGM_RSRC2:USER_SGPR: 6
; COMPUTE_PGM_RSRC2:TRAP_HANDLER: 0
; COMPUTE_PGM_RSRC2:TGID_X_EN: 1
; COMPUTE_PGM_RSRC2:TGID_Y_EN: 0
; COMPUTE_PGM_RSRC2:TGID_Z_EN: 0
; COMPUTE_PGM_RSRC2:TIDIG_COMP_CNT: 0
; COMPUTE_PGM_RSRC3_GFX90A:ACCUM_OFFSET: 4
; COMPUTE_PGM_RSRC3_GFX90A:TG_SPLIT: 0
	.section	.text._ZN5aiter22opus_moe_sorting_entryINS_32MoeSortingMultiPhaseKernel_P0_v1INS_19MoeSortingProblemMpIifhLi1ELb1ELb1ELb1EEEEENS4_5KargsEEEvT0_,"axG",@progbits,_ZN5aiter22opus_moe_sorting_entryINS_32MoeSortingMultiPhaseKernel_P0_v1INS_19MoeSortingProblemMpIifhLi1ELb1ELb1ELb1EEEEENS4_5KargsEEEvT0_,comdat
	.protected	_ZN5aiter22opus_moe_sorting_entryINS_32MoeSortingMultiPhaseKernel_P0_v1INS_19MoeSortingProblemMpIifhLi1ELb1ELb1ELb1EEEEENS4_5KargsEEEvT0_ ; -- Begin function _ZN5aiter22opus_moe_sorting_entryINS_32MoeSortingMultiPhaseKernel_P0_v1INS_19MoeSortingProblemMpIifhLi1ELb1ELb1ELb1EEEEENS4_5KargsEEEvT0_
	.globl	_ZN5aiter22opus_moe_sorting_entryINS_32MoeSortingMultiPhaseKernel_P0_v1INS_19MoeSortingProblemMpIifhLi1ELb1ELb1ELb1EEEEENS4_5KargsEEEvT0_
	.p2align	8
	.type	_ZN5aiter22opus_moe_sorting_entryINS_32MoeSortingMultiPhaseKernel_P0_v1INS_19MoeSortingProblemMpIifhLi1ELb1ELb1ELb1EEEEENS4_5KargsEEEvT0_,@function
_ZN5aiter22opus_moe_sorting_entryINS_32MoeSortingMultiPhaseKernel_P0_v1INS_19MoeSortingProblemMpIifhLi1ELb1ELb1ELb1EEEEENS4_5KargsEEEvT0_: ; @_ZN5aiter22opus_moe_sorting_entryINS_32MoeSortingMultiPhaseKernel_P0_v1INS_19MoeSortingProblemMpIifhLi1ELb1ELb1ELb1EEEEENS4_5KargsEEEvT0_
; %bb.0:
	s_load_dwordx4 s[8:11], s[4:5], 0x0
	s_load_dword s0, s[4:5], 0x24
	v_lshl_add_u32 v0, s6, 8, v0
	s_waitcnt lgkmcnt(0)
	s_load_dword s10, s[10:11], 0x0
	s_waitcnt lgkmcnt(0)
	s_mul_i32 s11, s10, s0
	v_cmp_gt_i32_e32 vcc, s11, v0
	s_and_saveexec_b64 s[2:3], vcc
	s_cbranch_execz .LBB63_5
; %bb.1:
	s_load_dwordx2 s[2:3], s[4:5], 0x10
	s_load_dword s12, s[4:5], 0x1c
	s_load_dwordx2 s[6:7], s[4:5], 0x28
	s_load_dword s14, s[4:5], 0x30
	s_add_i32 s1, s10, 31
	s_ashr_i32 s4, s1, 31
	s_lshr_b32 s4, s4, 27
	s_add_i32 s13, s1, s4
	s_andn2_b32 s13, s13, 31
	s_waitcnt lgkmcnt(0)
	s_lshl_b32 s14, s14, 8
	s_sub_i32 s15, 0, s0
	s_mov_b64 s[4:5], 0
	v_mov_b32_e32 v3, s9
	s_branch .LBB63_3
.LBB63_2:                               ;   in Loop: Header=BB63_3 Depth=1
	s_or_b64 exec, exec, s[0:1]
	v_add_u32_e32 v0, s14, v0
	v_cmp_le_i32_e32 vcc, s11, v0
	s_or_b64 s[4:5], vcc, s[4:5]
	s_andn2_b64 exec, exec, s[4:5]
	s_cbranch_execz .LBB63_5
.LBB63_3:                               ; =>This Inner Loop Header: Depth=1
	v_ashrrev_i32_e32 v1, 31, v0
	v_lshlrev_b64 v[4:5], 2, v[0:1]
	v_add_co_u32_e32 v4, vcc, s8, v4
	v_addc_co_u32_e32 v5, vcc, v3, v5, vcc
	global_load_dword v1, v[4:5], off
	v_mul_hi_u32 v2, s6, v0
	v_add_u32_e32 v2, v0, v2
	v_lshrrev_b32_e32 v2, s7, v2
	v_cmp_gt_i32_e64 s[0:1], s10, v2
	s_waitcnt vmcnt(0)
	v_cmp_gt_i32_e32 vcc, s12, v1
	s_and_b64 s[16:17], vcc, s[0:1]
	s_and_saveexec_b64 s[0:1], s[16:17]
	s_cbranch_execz .LBB63_2
; %bb.4:                                ;   in Loop: Header=BB63_3 Depth=1
	v_mad_u64_u32 v[4:5], s[16:17], s15, v2, v[0:1]
	v_add_u16_e32 v6, 1, v4
	v_mad_u64_u32 v[4:5], s[16:17], s13, v1, v[2:3]
	global_store_byte v4, v6, s[2:3]
	s_branch .LBB63_2
.LBB63_5:
	s_endpgm
	.section	.rodata,"a",@progbits
	.p2align	6, 0x0
	.amdhsa_kernel _ZN5aiter22opus_moe_sorting_entryINS_32MoeSortingMultiPhaseKernel_P0_v1INS_19MoeSortingProblemMpIifhLi1ELb1ELb1ELb1EEEEENS4_5KargsEEEvT0_
		.amdhsa_group_segment_fixed_size 0
		.amdhsa_private_segment_fixed_size 0
		.amdhsa_kernarg_size 304
		.amdhsa_user_sgpr_count 6
		.amdhsa_user_sgpr_private_segment_buffer 1
		.amdhsa_user_sgpr_dispatch_ptr 0
		.amdhsa_user_sgpr_queue_ptr 0
		.amdhsa_user_sgpr_kernarg_segment_ptr 1
		.amdhsa_user_sgpr_dispatch_id 0
		.amdhsa_user_sgpr_flat_scratch_init 0
		.amdhsa_user_sgpr_kernarg_preload_length 0
		.amdhsa_user_sgpr_kernarg_preload_offset 0
		.amdhsa_user_sgpr_private_segment_size 0
		.amdhsa_uses_dynamic_stack 0
		.amdhsa_system_sgpr_private_segment_wavefront_offset 0
		.amdhsa_system_sgpr_workgroup_id_x 1
		.amdhsa_system_sgpr_workgroup_id_y 0
		.amdhsa_system_sgpr_workgroup_id_z 0
		.amdhsa_system_sgpr_workgroup_info 0
		.amdhsa_system_vgpr_workitem_id 0
		.amdhsa_next_free_vgpr 7
		.amdhsa_next_free_sgpr 18
		.amdhsa_accum_offset 8
		.amdhsa_reserve_vcc 1
		.amdhsa_reserve_flat_scratch 0
		.amdhsa_float_round_mode_32 0
		.amdhsa_float_round_mode_16_64 0
		.amdhsa_float_denorm_mode_32 3
		.amdhsa_float_denorm_mode_16_64 3
		.amdhsa_dx10_clamp 1
		.amdhsa_ieee_mode 1
		.amdhsa_fp16_overflow 0
		.amdhsa_tg_split 0
		.amdhsa_exception_fp_ieee_invalid_op 0
		.amdhsa_exception_fp_denorm_src 0
		.amdhsa_exception_fp_ieee_div_zero 0
		.amdhsa_exception_fp_ieee_overflow 0
		.amdhsa_exception_fp_ieee_underflow 0
		.amdhsa_exception_fp_ieee_inexact 0
		.amdhsa_exception_int_div_zero 0
	.end_amdhsa_kernel
	.section	.text._ZN5aiter22opus_moe_sorting_entryINS_32MoeSortingMultiPhaseKernel_P0_v1INS_19MoeSortingProblemMpIifhLi1ELb1ELb1ELb1EEEEENS4_5KargsEEEvT0_,"axG",@progbits,_ZN5aiter22opus_moe_sorting_entryINS_32MoeSortingMultiPhaseKernel_P0_v1INS_19MoeSortingProblemMpIifhLi1ELb1ELb1ELb1EEEEENS4_5KargsEEEvT0_,comdat
.Lfunc_end63:
	.size	_ZN5aiter22opus_moe_sorting_entryINS_32MoeSortingMultiPhaseKernel_P0_v1INS_19MoeSortingProblemMpIifhLi1ELb1ELb1ELb1EEEEENS4_5KargsEEEvT0_, .Lfunc_end63-_ZN5aiter22opus_moe_sorting_entryINS_32MoeSortingMultiPhaseKernel_P0_v1INS_19MoeSortingProblemMpIifhLi1ELb1ELb1ELb1EEEEENS4_5KargsEEEvT0_
                                        ; -- End function
	.section	.AMDGPU.csdata,"",@progbits
; Kernel info:
; codeLenInByte = 264
; NumSgprs: 22
; NumVgprs: 7
; NumAgprs: 0
; TotalNumVgprs: 7
; ScratchSize: 0
; MemoryBound: 0
; FloatMode: 240
; IeeeMode: 1
; LDSByteSize: 0 bytes/workgroup (compile time only)
; SGPRBlocks: 2
; VGPRBlocks: 0
; NumSGPRsForWavesPerEU: 22
; NumVGPRsForWavesPerEU: 7
; AccumOffset: 8
; Occupancy: 8
; WaveLimiterHint : 1
; COMPUTE_PGM_RSRC2:SCRATCH_EN: 0
; COMPUTE_PGM_RSRC2:USER_SGPR: 6
; COMPUTE_PGM_RSRC2:TRAP_HANDLER: 0
; COMPUTE_PGM_RSRC2:TGID_X_EN: 1
; COMPUTE_PGM_RSRC2:TGID_Y_EN: 0
; COMPUTE_PGM_RSRC2:TGID_Z_EN: 0
; COMPUTE_PGM_RSRC2:TIDIG_COMP_CNT: 0
; COMPUTE_PGM_RSRC3_GFX90A:ACCUM_OFFSET: 1
; COMPUTE_PGM_RSRC3_GFX90A:TG_SPLIT: 0
	.section	.text._ZN5aiter22opus_moe_sorting_entryINS_32MoeSortingMultiPhaseKernel_P0_v1INS_19MoeSortingProblemMpIifhLi1ELb1ELb0ELb1EEEEENS4_5KargsEEEvT0_,"axG",@progbits,_ZN5aiter22opus_moe_sorting_entryINS_32MoeSortingMultiPhaseKernel_P0_v1INS_19MoeSortingProblemMpIifhLi1ELb1ELb0ELb1EEEEENS4_5KargsEEEvT0_,comdat
	.protected	_ZN5aiter22opus_moe_sorting_entryINS_32MoeSortingMultiPhaseKernel_P0_v1INS_19MoeSortingProblemMpIifhLi1ELb1ELb0ELb1EEEEENS4_5KargsEEEvT0_ ; -- Begin function _ZN5aiter22opus_moe_sorting_entryINS_32MoeSortingMultiPhaseKernel_P0_v1INS_19MoeSortingProblemMpIifhLi1ELb1ELb0ELb1EEEEENS4_5KargsEEEvT0_
	.globl	_ZN5aiter22opus_moe_sorting_entryINS_32MoeSortingMultiPhaseKernel_P0_v1INS_19MoeSortingProblemMpIifhLi1ELb1ELb0ELb1EEEEENS4_5KargsEEEvT0_
	.p2align	8
	.type	_ZN5aiter22opus_moe_sorting_entryINS_32MoeSortingMultiPhaseKernel_P0_v1INS_19MoeSortingProblemMpIifhLi1ELb1ELb0ELb1EEEEENS4_5KargsEEEvT0_,@function
_ZN5aiter22opus_moe_sorting_entryINS_32MoeSortingMultiPhaseKernel_P0_v1INS_19MoeSortingProblemMpIifhLi1ELb1ELb0ELb1EEEEENS4_5KargsEEEvT0_: ; @_ZN5aiter22opus_moe_sorting_entryINS_32MoeSortingMultiPhaseKernel_P0_v1INS_19MoeSortingProblemMpIifhLi1ELb1ELb0ELb1EEEEENS4_5KargsEEEvT0_
; %bb.0:
	s_load_dwordx4 s[0:3], s[4:5], 0x18
	v_lshl_add_u32 v0, s6, 8, v0
	s_waitcnt lgkmcnt(0)
	s_mul_i32 s0, s3, s0
	v_cmp_gt_i32_e32 vcc, s0, v0
	s_and_saveexec_b64 s[6:7], vcc
	s_cbranch_execz .LBB64_5
; %bb.1:
	s_load_dword s12, s[4:5], 0x30
	s_load_dwordx2 s[6:7], s[4:5], 0x0
	s_load_dwordx2 s[8:9], s[4:5], 0x10
	s_load_dwordx2 s[10:11], s[4:5], 0x28
	s_sub_i32 s3, 0, s3
	s_waitcnt lgkmcnt(0)
	s_lshl_b32 s14, s12, 8
	s_mov_b64 s[4:5], 0
	v_mov_b32_e32 v2, s7
	s_branch .LBB64_3
.LBB64_2:                               ;   in Loop: Header=BB64_3 Depth=1
	s_or_b64 exec, exec, s[12:13]
	v_add_u32_e32 v0, s14, v0
	v_cmp_le_i32_e32 vcc, s0, v0
	s_or_b64 s[4:5], vcc, s[4:5]
	s_andn2_b64 exec, exec, s[4:5]
	s_cbranch_execz .LBB64_5
.LBB64_3:                               ; =>This Inner Loop Header: Depth=1
	v_ashrrev_i32_e32 v1, 31, v0
	v_lshlrev_b64 v[4:5], 2, v[0:1]
	v_add_co_u32_e32 v4, vcc, s6, v4
	v_addc_co_u32_e32 v5, vcc, v2, v5, vcc
	global_load_dword v1, v[4:5], off
	s_waitcnt vmcnt(0)
	v_cmp_gt_i32_e32 vcc, s1, v1
	s_and_saveexec_b64 s[12:13], vcc
	s_cbranch_execz .LBB64_2
; %bb.4:                                ;   in Loop: Header=BB64_3 Depth=1
	v_mul_hi_u32 v3, s10, v0
	v_add_u32_e32 v3, v0, v3
	v_lshrrev_b32_e32 v4, s11, v3
	v_mad_u64_u32 v[6:7], s[16:17], s3, v4, v[0:1]
	v_add_u16_e32 v3, 1, v6
	v_mad_u64_u32 v[4:5], s[16:17], v1, s2, v[4:5]
	global_store_byte v4, v3, s[8:9]
	s_branch .LBB64_2
.LBB64_5:
	s_endpgm
	.section	.rodata,"a",@progbits
	.p2align	6, 0x0
	.amdhsa_kernel _ZN5aiter22opus_moe_sorting_entryINS_32MoeSortingMultiPhaseKernel_P0_v1INS_19MoeSortingProblemMpIifhLi1ELb1ELb0ELb1EEEEENS4_5KargsEEEvT0_
		.amdhsa_group_segment_fixed_size 0
		.amdhsa_private_segment_fixed_size 0
		.amdhsa_kernarg_size 304
		.amdhsa_user_sgpr_count 6
		.amdhsa_user_sgpr_private_segment_buffer 1
		.amdhsa_user_sgpr_dispatch_ptr 0
		.amdhsa_user_sgpr_queue_ptr 0
		.amdhsa_user_sgpr_kernarg_segment_ptr 1
		.amdhsa_user_sgpr_dispatch_id 0
		.amdhsa_user_sgpr_flat_scratch_init 0
		.amdhsa_user_sgpr_kernarg_preload_length 0
		.amdhsa_user_sgpr_kernarg_preload_offset 0
		.amdhsa_user_sgpr_private_segment_size 0
		.amdhsa_uses_dynamic_stack 0
		.amdhsa_system_sgpr_private_segment_wavefront_offset 0
		.amdhsa_system_sgpr_workgroup_id_x 1
		.amdhsa_system_sgpr_workgroup_id_y 0
		.amdhsa_system_sgpr_workgroup_id_z 0
		.amdhsa_system_sgpr_workgroup_info 0
		.amdhsa_system_vgpr_workitem_id 0
		.amdhsa_next_free_vgpr 8
		.amdhsa_next_free_sgpr 18
		.amdhsa_accum_offset 8
		.amdhsa_reserve_vcc 1
		.amdhsa_reserve_flat_scratch 0
		.amdhsa_float_round_mode_32 0
		.amdhsa_float_round_mode_16_64 0
		.amdhsa_float_denorm_mode_32 3
		.amdhsa_float_denorm_mode_16_64 3
		.amdhsa_dx10_clamp 1
		.amdhsa_ieee_mode 1
		.amdhsa_fp16_overflow 0
		.amdhsa_tg_split 0
		.amdhsa_exception_fp_ieee_invalid_op 0
		.amdhsa_exception_fp_denorm_src 0
		.amdhsa_exception_fp_ieee_div_zero 0
		.amdhsa_exception_fp_ieee_overflow 0
		.amdhsa_exception_fp_ieee_underflow 0
		.amdhsa_exception_fp_ieee_inexact 0
		.amdhsa_exception_int_div_zero 0
	.end_amdhsa_kernel
	.section	.text._ZN5aiter22opus_moe_sorting_entryINS_32MoeSortingMultiPhaseKernel_P0_v1INS_19MoeSortingProblemMpIifhLi1ELb1ELb0ELb1EEEEENS4_5KargsEEEvT0_,"axG",@progbits,_ZN5aiter22opus_moe_sorting_entryINS_32MoeSortingMultiPhaseKernel_P0_v1INS_19MoeSortingProblemMpIifhLi1ELb1ELb0ELb1EEEEENS4_5KargsEEEvT0_,comdat
.Lfunc_end64:
	.size	_ZN5aiter22opus_moe_sorting_entryINS_32MoeSortingMultiPhaseKernel_P0_v1INS_19MoeSortingProblemMpIifhLi1ELb1ELb0ELb1EEEEENS4_5KargsEEEvT0_, .Lfunc_end64-_ZN5aiter22opus_moe_sorting_entryINS_32MoeSortingMultiPhaseKernel_P0_v1INS_19MoeSortingProblemMpIifhLi1ELb1ELb0ELb1EEEEENS4_5KargsEEEvT0_
                                        ; -- End function
	.section	.AMDGPU.csdata,"",@progbits
; Kernel info:
; codeLenInByte = 212
; NumSgprs: 22
; NumVgprs: 8
; NumAgprs: 0
; TotalNumVgprs: 8
; ScratchSize: 0
; MemoryBound: 0
; FloatMode: 240
; IeeeMode: 1
; LDSByteSize: 0 bytes/workgroup (compile time only)
; SGPRBlocks: 2
; VGPRBlocks: 0
; NumSGPRsForWavesPerEU: 22
; NumVGPRsForWavesPerEU: 8
; AccumOffset: 8
; Occupancy: 8
; WaveLimiterHint : 1
; COMPUTE_PGM_RSRC2:SCRATCH_EN: 0
; COMPUTE_PGM_RSRC2:USER_SGPR: 6
; COMPUTE_PGM_RSRC2:TRAP_HANDLER: 0
; COMPUTE_PGM_RSRC2:TGID_X_EN: 1
; COMPUTE_PGM_RSRC2:TGID_Y_EN: 0
; COMPUTE_PGM_RSRC2:TGID_Z_EN: 0
; COMPUTE_PGM_RSRC2:TIDIG_COMP_CNT: 0
; COMPUTE_PGM_RSRC3_GFX90A:ACCUM_OFFSET: 1
; COMPUTE_PGM_RSRC3_GFX90A:TG_SPLIT: 0
	.section	.text._ZN5aiter22opus_moe_sorting_entryINS_32MoeSortingMultiPhaseKernel_P0_v1INS_19MoeSortingProblemMpIifhLi1ELb0ELb1ELb1EEEEENS4_5KargsEEEvT0_,"axG",@progbits,_ZN5aiter22opus_moe_sorting_entryINS_32MoeSortingMultiPhaseKernel_P0_v1INS_19MoeSortingProblemMpIifhLi1ELb0ELb1ELb1EEEEENS4_5KargsEEEvT0_,comdat
	.protected	_ZN5aiter22opus_moe_sorting_entryINS_32MoeSortingMultiPhaseKernel_P0_v1INS_19MoeSortingProblemMpIifhLi1ELb0ELb1ELb1EEEEENS4_5KargsEEEvT0_ ; -- Begin function _ZN5aiter22opus_moe_sorting_entryINS_32MoeSortingMultiPhaseKernel_P0_v1INS_19MoeSortingProblemMpIifhLi1ELb0ELb1ELb1EEEEENS4_5KargsEEEvT0_
	.globl	_ZN5aiter22opus_moe_sorting_entryINS_32MoeSortingMultiPhaseKernel_P0_v1INS_19MoeSortingProblemMpIifhLi1ELb0ELb1ELb1EEEEENS4_5KargsEEEvT0_
	.p2align	8
	.type	_ZN5aiter22opus_moe_sorting_entryINS_32MoeSortingMultiPhaseKernel_P0_v1INS_19MoeSortingProblemMpIifhLi1ELb0ELb1ELb1EEEEENS4_5KargsEEEvT0_,@function
_ZN5aiter22opus_moe_sorting_entryINS_32MoeSortingMultiPhaseKernel_P0_v1INS_19MoeSortingProblemMpIifhLi1ELb0ELb1ELb1EEEEENS4_5KargsEEEvT0_: ; @_ZN5aiter22opus_moe_sorting_entryINS_32MoeSortingMultiPhaseKernel_P0_v1INS_19MoeSortingProblemMpIifhLi1ELb0ELb1ELb1EEEEENS4_5KargsEEEvT0_
; %bb.0:
	s_load_dwordx4 s[8:11], s[4:5], 0x0
	s_load_dword s0, s[4:5], 0x24
	v_lshl_add_u32 v0, s6, 8, v0
	s_waitcnt lgkmcnt(0)
	s_load_dword s10, s[10:11], 0x0
	s_waitcnt lgkmcnt(0)
	s_mul_i32 s11, s10, s0
	v_cmp_gt_i32_e32 vcc, s11, v0
	s_and_saveexec_b64 s[2:3], vcc
	s_cbranch_execz .LBB65_5
; %bb.1:
	s_load_dwordx2 s[2:3], s[4:5], 0x10
	s_load_dword s12, s[4:5], 0x1c
	s_load_dwordx2 s[6:7], s[4:5], 0x28
	s_load_dword s14, s[4:5], 0x30
	s_add_i32 s1, s10, 31
	s_ashr_i32 s4, s1, 31
	s_lshr_b32 s4, s4, 27
	s_add_i32 s13, s1, s4
	s_andn2_b32 s13, s13, 31
	s_waitcnt lgkmcnt(0)
	s_lshl_b32 s14, s14, 8
	s_sub_i32 s15, 0, s0
	s_mov_b64 s[4:5], 0
	v_mov_b32_e32 v3, s9
	s_branch .LBB65_3
.LBB65_2:                               ;   in Loop: Header=BB65_3 Depth=1
	s_or_b64 exec, exec, s[0:1]
	v_add_u32_e32 v0, s14, v0
	v_cmp_le_i32_e32 vcc, s11, v0
	s_or_b64 s[4:5], vcc, s[4:5]
	s_andn2_b64 exec, exec, s[4:5]
	s_cbranch_execz .LBB65_5
.LBB65_3:                               ; =>This Inner Loop Header: Depth=1
	v_ashrrev_i32_e32 v1, 31, v0
	v_lshlrev_b64 v[4:5], 2, v[0:1]
	v_add_co_u32_e32 v4, vcc, s8, v4
	v_addc_co_u32_e32 v5, vcc, v3, v5, vcc
	global_load_dword v1, v[4:5], off
	v_mul_hi_u32 v2, s6, v0
	v_add_u32_e32 v2, v0, v2
	v_lshrrev_b32_e32 v2, s7, v2
	v_cmp_gt_i32_e64 s[0:1], s10, v2
	s_waitcnt vmcnt(0)
	v_cmp_gt_i32_e32 vcc, s12, v1
	s_and_b64 s[16:17], vcc, s[0:1]
	s_and_saveexec_b64 s[0:1], s[16:17]
	s_cbranch_execz .LBB65_2
; %bb.4:                                ;   in Loop: Header=BB65_3 Depth=1
	v_mad_u64_u32 v[4:5], s[16:17], s15, v2, v[0:1]
	v_add_u16_e32 v6, 1, v4
	v_mad_u64_u32 v[4:5], s[16:17], s13, v1, v[2:3]
	global_store_byte v4, v6, s[2:3]
	s_branch .LBB65_2
.LBB65_5:
	s_endpgm
	.section	.rodata,"a",@progbits
	.p2align	6, 0x0
	.amdhsa_kernel _ZN5aiter22opus_moe_sorting_entryINS_32MoeSortingMultiPhaseKernel_P0_v1INS_19MoeSortingProblemMpIifhLi1ELb0ELb1ELb1EEEEENS4_5KargsEEEvT0_
		.amdhsa_group_segment_fixed_size 0
		.amdhsa_private_segment_fixed_size 0
		.amdhsa_kernarg_size 304
		.amdhsa_user_sgpr_count 6
		.amdhsa_user_sgpr_private_segment_buffer 1
		.amdhsa_user_sgpr_dispatch_ptr 0
		.amdhsa_user_sgpr_queue_ptr 0
		.amdhsa_user_sgpr_kernarg_segment_ptr 1
		.amdhsa_user_sgpr_dispatch_id 0
		.amdhsa_user_sgpr_flat_scratch_init 0
		.amdhsa_user_sgpr_kernarg_preload_length 0
		.amdhsa_user_sgpr_kernarg_preload_offset 0
		.amdhsa_user_sgpr_private_segment_size 0
		.amdhsa_uses_dynamic_stack 0
		.amdhsa_system_sgpr_private_segment_wavefront_offset 0
		.amdhsa_system_sgpr_workgroup_id_x 1
		.amdhsa_system_sgpr_workgroup_id_y 0
		.amdhsa_system_sgpr_workgroup_id_z 0
		.amdhsa_system_sgpr_workgroup_info 0
		.amdhsa_system_vgpr_workitem_id 0
		.amdhsa_next_free_vgpr 7
		.amdhsa_next_free_sgpr 18
		.amdhsa_accum_offset 8
		.amdhsa_reserve_vcc 1
		.amdhsa_reserve_flat_scratch 0
		.amdhsa_float_round_mode_32 0
		.amdhsa_float_round_mode_16_64 0
		.amdhsa_float_denorm_mode_32 3
		.amdhsa_float_denorm_mode_16_64 3
		.amdhsa_dx10_clamp 1
		.amdhsa_ieee_mode 1
		.amdhsa_fp16_overflow 0
		.amdhsa_tg_split 0
		.amdhsa_exception_fp_ieee_invalid_op 0
		.amdhsa_exception_fp_denorm_src 0
		.amdhsa_exception_fp_ieee_div_zero 0
		.amdhsa_exception_fp_ieee_overflow 0
		.amdhsa_exception_fp_ieee_underflow 0
		.amdhsa_exception_fp_ieee_inexact 0
		.amdhsa_exception_int_div_zero 0
	.end_amdhsa_kernel
	.section	.text._ZN5aiter22opus_moe_sorting_entryINS_32MoeSortingMultiPhaseKernel_P0_v1INS_19MoeSortingProblemMpIifhLi1ELb0ELb1ELb1EEEEENS4_5KargsEEEvT0_,"axG",@progbits,_ZN5aiter22opus_moe_sorting_entryINS_32MoeSortingMultiPhaseKernel_P0_v1INS_19MoeSortingProblemMpIifhLi1ELb0ELb1ELb1EEEEENS4_5KargsEEEvT0_,comdat
.Lfunc_end65:
	.size	_ZN5aiter22opus_moe_sorting_entryINS_32MoeSortingMultiPhaseKernel_P0_v1INS_19MoeSortingProblemMpIifhLi1ELb0ELb1ELb1EEEEENS4_5KargsEEEvT0_, .Lfunc_end65-_ZN5aiter22opus_moe_sorting_entryINS_32MoeSortingMultiPhaseKernel_P0_v1INS_19MoeSortingProblemMpIifhLi1ELb0ELb1ELb1EEEEENS4_5KargsEEEvT0_
                                        ; -- End function
	.section	.AMDGPU.csdata,"",@progbits
; Kernel info:
; codeLenInByte = 264
; NumSgprs: 22
; NumVgprs: 7
; NumAgprs: 0
; TotalNumVgprs: 7
; ScratchSize: 0
; MemoryBound: 0
; FloatMode: 240
; IeeeMode: 1
; LDSByteSize: 0 bytes/workgroup (compile time only)
; SGPRBlocks: 2
; VGPRBlocks: 0
; NumSGPRsForWavesPerEU: 22
; NumVGPRsForWavesPerEU: 7
; AccumOffset: 8
; Occupancy: 8
; WaveLimiterHint : 1
; COMPUTE_PGM_RSRC2:SCRATCH_EN: 0
; COMPUTE_PGM_RSRC2:USER_SGPR: 6
; COMPUTE_PGM_RSRC2:TRAP_HANDLER: 0
; COMPUTE_PGM_RSRC2:TGID_X_EN: 1
; COMPUTE_PGM_RSRC2:TGID_Y_EN: 0
; COMPUTE_PGM_RSRC2:TGID_Z_EN: 0
; COMPUTE_PGM_RSRC2:TIDIG_COMP_CNT: 0
; COMPUTE_PGM_RSRC3_GFX90A:ACCUM_OFFSET: 1
; COMPUTE_PGM_RSRC3_GFX90A:TG_SPLIT: 0
	.section	.text._ZN5aiter22opus_moe_sorting_entryINS_32MoeSortingMultiPhaseKernel_P0_v1INS_19MoeSortingProblemMpIifhLi1ELb0ELb0ELb1EEEEENS4_5KargsEEEvT0_,"axG",@progbits,_ZN5aiter22opus_moe_sorting_entryINS_32MoeSortingMultiPhaseKernel_P0_v1INS_19MoeSortingProblemMpIifhLi1ELb0ELb0ELb1EEEEENS4_5KargsEEEvT0_,comdat
	.protected	_ZN5aiter22opus_moe_sorting_entryINS_32MoeSortingMultiPhaseKernel_P0_v1INS_19MoeSortingProblemMpIifhLi1ELb0ELb0ELb1EEEEENS4_5KargsEEEvT0_ ; -- Begin function _ZN5aiter22opus_moe_sorting_entryINS_32MoeSortingMultiPhaseKernel_P0_v1INS_19MoeSortingProblemMpIifhLi1ELb0ELb0ELb1EEEEENS4_5KargsEEEvT0_
	.globl	_ZN5aiter22opus_moe_sorting_entryINS_32MoeSortingMultiPhaseKernel_P0_v1INS_19MoeSortingProblemMpIifhLi1ELb0ELb0ELb1EEEEENS4_5KargsEEEvT0_
	.p2align	8
	.type	_ZN5aiter22opus_moe_sorting_entryINS_32MoeSortingMultiPhaseKernel_P0_v1INS_19MoeSortingProblemMpIifhLi1ELb0ELb0ELb1EEEEENS4_5KargsEEEvT0_,@function
_ZN5aiter22opus_moe_sorting_entryINS_32MoeSortingMultiPhaseKernel_P0_v1INS_19MoeSortingProblemMpIifhLi1ELb0ELb0ELb1EEEEENS4_5KargsEEEvT0_: ; @_ZN5aiter22opus_moe_sorting_entryINS_32MoeSortingMultiPhaseKernel_P0_v1INS_19MoeSortingProblemMpIifhLi1ELb0ELb0ELb1EEEEENS4_5KargsEEEvT0_
; %bb.0:
	s_load_dwordx4 s[0:3], s[4:5], 0x18
	v_lshl_add_u32 v0, s6, 8, v0
	s_waitcnt lgkmcnt(0)
	s_mul_i32 s0, s3, s0
	v_cmp_gt_i32_e32 vcc, s0, v0
	s_and_saveexec_b64 s[6:7], vcc
	s_cbranch_execz .LBB66_5
; %bb.1:
	s_load_dword s12, s[4:5], 0x30
	s_load_dwordx2 s[6:7], s[4:5], 0x0
	s_load_dwordx2 s[8:9], s[4:5], 0x10
	;; [unrolled: 1-line block ×3, first 2 shown]
	s_sub_i32 s3, 0, s3
	s_waitcnt lgkmcnt(0)
	s_lshl_b32 s14, s12, 8
	s_mov_b64 s[4:5], 0
	v_mov_b32_e32 v2, s7
	s_branch .LBB66_3
.LBB66_2:                               ;   in Loop: Header=BB66_3 Depth=1
	s_or_b64 exec, exec, s[12:13]
	v_add_u32_e32 v0, s14, v0
	v_cmp_le_i32_e32 vcc, s0, v0
	s_or_b64 s[4:5], vcc, s[4:5]
	s_andn2_b64 exec, exec, s[4:5]
	s_cbranch_execz .LBB66_5
.LBB66_3:                               ; =>This Inner Loop Header: Depth=1
	v_ashrrev_i32_e32 v1, 31, v0
	v_lshlrev_b64 v[4:5], 2, v[0:1]
	v_add_co_u32_e32 v4, vcc, s6, v4
	v_addc_co_u32_e32 v5, vcc, v2, v5, vcc
	global_load_dword v1, v[4:5], off
	s_waitcnt vmcnt(0)
	v_cmp_gt_i32_e32 vcc, s1, v1
	s_and_saveexec_b64 s[12:13], vcc
	s_cbranch_execz .LBB66_2
; %bb.4:                                ;   in Loop: Header=BB66_3 Depth=1
	v_mul_hi_u32 v3, s10, v0
	v_add_u32_e32 v3, v0, v3
	v_lshrrev_b32_e32 v4, s11, v3
	v_mad_u64_u32 v[6:7], s[16:17], s3, v4, v[0:1]
	v_add_u16_e32 v3, 1, v6
	v_mad_u64_u32 v[4:5], s[16:17], v1, s2, v[4:5]
	global_store_byte v4, v3, s[8:9]
	s_branch .LBB66_2
.LBB66_5:
	s_endpgm
	.section	.rodata,"a",@progbits
	.p2align	6, 0x0
	.amdhsa_kernel _ZN5aiter22opus_moe_sorting_entryINS_32MoeSortingMultiPhaseKernel_P0_v1INS_19MoeSortingProblemMpIifhLi1ELb0ELb0ELb1EEEEENS4_5KargsEEEvT0_
		.amdhsa_group_segment_fixed_size 0
		.amdhsa_private_segment_fixed_size 0
		.amdhsa_kernarg_size 304
		.amdhsa_user_sgpr_count 6
		.amdhsa_user_sgpr_private_segment_buffer 1
		.amdhsa_user_sgpr_dispatch_ptr 0
		.amdhsa_user_sgpr_queue_ptr 0
		.amdhsa_user_sgpr_kernarg_segment_ptr 1
		.amdhsa_user_sgpr_dispatch_id 0
		.amdhsa_user_sgpr_flat_scratch_init 0
		.amdhsa_user_sgpr_kernarg_preload_length 0
		.amdhsa_user_sgpr_kernarg_preload_offset 0
		.amdhsa_user_sgpr_private_segment_size 0
		.amdhsa_uses_dynamic_stack 0
		.amdhsa_system_sgpr_private_segment_wavefront_offset 0
		.amdhsa_system_sgpr_workgroup_id_x 1
		.amdhsa_system_sgpr_workgroup_id_y 0
		.amdhsa_system_sgpr_workgroup_id_z 0
		.amdhsa_system_sgpr_workgroup_info 0
		.amdhsa_system_vgpr_workitem_id 0
		.amdhsa_next_free_vgpr 8
		.amdhsa_next_free_sgpr 18
		.amdhsa_accum_offset 8
		.amdhsa_reserve_vcc 1
		.amdhsa_reserve_flat_scratch 0
		.amdhsa_float_round_mode_32 0
		.amdhsa_float_round_mode_16_64 0
		.amdhsa_float_denorm_mode_32 3
		.amdhsa_float_denorm_mode_16_64 3
		.amdhsa_dx10_clamp 1
		.amdhsa_ieee_mode 1
		.amdhsa_fp16_overflow 0
		.amdhsa_tg_split 0
		.amdhsa_exception_fp_ieee_invalid_op 0
		.amdhsa_exception_fp_denorm_src 0
		.amdhsa_exception_fp_ieee_div_zero 0
		.amdhsa_exception_fp_ieee_overflow 0
		.amdhsa_exception_fp_ieee_underflow 0
		.amdhsa_exception_fp_ieee_inexact 0
		.amdhsa_exception_int_div_zero 0
	.end_amdhsa_kernel
	.section	.text._ZN5aiter22opus_moe_sorting_entryINS_32MoeSortingMultiPhaseKernel_P0_v1INS_19MoeSortingProblemMpIifhLi1ELb0ELb0ELb1EEEEENS4_5KargsEEEvT0_,"axG",@progbits,_ZN5aiter22opus_moe_sorting_entryINS_32MoeSortingMultiPhaseKernel_P0_v1INS_19MoeSortingProblemMpIifhLi1ELb0ELb0ELb1EEEEENS4_5KargsEEEvT0_,comdat
.Lfunc_end66:
	.size	_ZN5aiter22opus_moe_sorting_entryINS_32MoeSortingMultiPhaseKernel_P0_v1INS_19MoeSortingProblemMpIifhLi1ELb0ELb0ELb1EEEEENS4_5KargsEEEvT0_, .Lfunc_end66-_ZN5aiter22opus_moe_sorting_entryINS_32MoeSortingMultiPhaseKernel_P0_v1INS_19MoeSortingProblemMpIifhLi1ELb0ELb0ELb1EEEEENS4_5KargsEEEvT0_
                                        ; -- End function
	.section	.AMDGPU.csdata,"",@progbits
; Kernel info:
; codeLenInByte = 212
; NumSgprs: 22
; NumVgprs: 8
; NumAgprs: 0
; TotalNumVgprs: 8
; ScratchSize: 0
; MemoryBound: 0
; FloatMode: 240
; IeeeMode: 1
; LDSByteSize: 0 bytes/workgroup (compile time only)
; SGPRBlocks: 2
; VGPRBlocks: 0
; NumSGPRsForWavesPerEU: 22
; NumVGPRsForWavesPerEU: 8
; AccumOffset: 8
; Occupancy: 8
; WaveLimiterHint : 1
; COMPUTE_PGM_RSRC2:SCRATCH_EN: 0
; COMPUTE_PGM_RSRC2:USER_SGPR: 6
; COMPUTE_PGM_RSRC2:TRAP_HANDLER: 0
; COMPUTE_PGM_RSRC2:TGID_X_EN: 1
; COMPUTE_PGM_RSRC2:TGID_Y_EN: 0
; COMPUTE_PGM_RSRC2:TGID_Z_EN: 0
; COMPUTE_PGM_RSRC2:TIDIG_COMP_CNT: 0
; COMPUTE_PGM_RSRC3_GFX90A:ACCUM_OFFSET: 1
; COMPUTE_PGM_RSRC3_GFX90A:TG_SPLIT: 0
	.section	.text._ZN5aiter22opus_moe_sorting_entryINS_32MoeSortingMultiPhaseKernel_P0_v1INS_19MoeSortingProblemMpIifiLi1ELb1ELb1ELb1EEEEENS4_5KargsEEEvT0_,"axG",@progbits,_ZN5aiter22opus_moe_sorting_entryINS_32MoeSortingMultiPhaseKernel_P0_v1INS_19MoeSortingProblemMpIifiLi1ELb1ELb1ELb1EEEEENS4_5KargsEEEvT0_,comdat
	.protected	_ZN5aiter22opus_moe_sorting_entryINS_32MoeSortingMultiPhaseKernel_P0_v1INS_19MoeSortingProblemMpIifiLi1ELb1ELb1ELb1EEEEENS4_5KargsEEEvT0_ ; -- Begin function _ZN5aiter22opus_moe_sorting_entryINS_32MoeSortingMultiPhaseKernel_P0_v1INS_19MoeSortingProblemMpIifiLi1ELb1ELb1ELb1EEEEENS4_5KargsEEEvT0_
	.globl	_ZN5aiter22opus_moe_sorting_entryINS_32MoeSortingMultiPhaseKernel_P0_v1INS_19MoeSortingProblemMpIifiLi1ELb1ELb1ELb1EEEEENS4_5KargsEEEvT0_
	.p2align	8
	.type	_ZN5aiter22opus_moe_sorting_entryINS_32MoeSortingMultiPhaseKernel_P0_v1INS_19MoeSortingProblemMpIifiLi1ELb1ELb1ELb1EEEEENS4_5KargsEEEvT0_,@function
_ZN5aiter22opus_moe_sorting_entryINS_32MoeSortingMultiPhaseKernel_P0_v1INS_19MoeSortingProblemMpIifiLi1ELb1ELb1ELb1EEEEENS4_5KargsEEEvT0_: ; @_ZN5aiter22opus_moe_sorting_entryINS_32MoeSortingMultiPhaseKernel_P0_v1INS_19MoeSortingProblemMpIifiLi1ELb1ELb1ELb1EEEEENS4_5KargsEEEvT0_
; %bb.0:
	s_load_dwordx4 s[8:11], s[4:5], 0x0
	s_load_dword s0, s[4:5], 0x24
	v_lshl_add_u32 v0, s6, 8, v0
	s_waitcnt lgkmcnt(0)
	s_load_dword s10, s[10:11], 0x0
	s_waitcnt lgkmcnt(0)
	s_mul_i32 s11, s10, s0
	v_cmp_gt_i32_e32 vcc, s11, v0
	s_and_saveexec_b64 s[2:3], vcc
	s_cbranch_execz .LBB67_5
; %bb.1:
	s_load_dwordx2 s[2:3], s[4:5], 0x10
	s_load_dword s12, s[4:5], 0x1c
	s_load_dwordx2 s[6:7], s[4:5], 0x28
	s_load_dword s14, s[4:5], 0x30
	s_add_i32 s1, s10, 31
	s_ashr_i32 s4, s1, 31
	s_lshr_b32 s4, s4, 27
	s_add_i32 s13, s1, s4
	s_andn2_b32 s13, s13, 31
	s_waitcnt lgkmcnt(0)
	s_lshl_b32 s14, s14, 8
	s_sub_i32 s15, 0, s0
	s_mov_b64 s[4:5], 0
	v_mov_b32_e32 v3, s9
	v_mov_b32_e32 v4, 0
	s_branch .LBB67_3
.LBB67_2:                               ;   in Loop: Header=BB67_3 Depth=1
	s_or_b64 exec, exec, s[0:1]
	v_add_u32_e32 v0, s14, v0
	v_cmp_le_i32_e32 vcc, s11, v0
	s_or_b64 s[4:5], vcc, s[4:5]
	s_andn2_b64 exec, exec, s[4:5]
	s_cbranch_execz .LBB67_5
.LBB67_3:                               ; =>This Inner Loop Header: Depth=1
	v_ashrrev_i32_e32 v1, 31, v0
	v_lshlrev_b64 v[6:7], 2, v[0:1]
	v_add_co_u32_e32 v6, vcc, s8, v6
	v_addc_co_u32_e32 v7, vcc, v3, v7, vcc
	global_load_dword v1, v[6:7], off
	v_mul_hi_u32 v2, s6, v0
	v_add_u32_e32 v2, v0, v2
	v_lshrrev_b32_e32 v2, s7, v2
	v_cmp_gt_i32_e64 s[0:1], s10, v2
	s_waitcnt vmcnt(0)
	v_cmp_gt_i32_e32 vcc, s12, v1
	s_and_b64 s[16:17], vcc, s[0:1]
	s_and_saveexec_b64 s[0:1], s[16:17]
	s_cbranch_execz .LBB67_2
; %bb.4:                                ;   in Loop: Header=BB67_3 Depth=1
	v_mad_u64_u32 v[6:7], s[16:17], s13, v1, v[2:3]
	v_mov_b32_e32 v7, v4
	v_mul_lo_u32 v5, s15, v2
	v_lshlrev_b64 v[6:7], 2, v[6:7]
	v_add3_u32 v5, v0, v5, 1
	v_mov_b32_e32 v1, s3
	v_add_co_u32_e32 v6, vcc, s2, v6
	v_and_b32_e32 v5, 0xffff, v5
	v_addc_co_u32_e32 v7, vcc, v1, v7, vcc
	global_store_dword v[6:7], v5, off
	s_branch .LBB67_2
.LBB67_5:
	s_endpgm
	.section	.rodata,"a",@progbits
	.p2align	6, 0x0
	.amdhsa_kernel _ZN5aiter22opus_moe_sorting_entryINS_32MoeSortingMultiPhaseKernel_P0_v1INS_19MoeSortingProblemMpIifiLi1ELb1ELb1ELb1EEEEENS4_5KargsEEEvT0_
		.amdhsa_group_segment_fixed_size 0
		.amdhsa_private_segment_fixed_size 0
		.amdhsa_kernarg_size 304
		.amdhsa_user_sgpr_count 6
		.amdhsa_user_sgpr_private_segment_buffer 1
		.amdhsa_user_sgpr_dispatch_ptr 0
		.amdhsa_user_sgpr_queue_ptr 0
		.amdhsa_user_sgpr_kernarg_segment_ptr 1
		.amdhsa_user_sgpr_dispatch_id 0
		.amdhsa_user_sgpr_flat_scratch_init 0
		.amdhsa_user_sgpr_kernarg_preload_length 0
		.amdhsa_user_sgpr_kernarg_preload_offset 0
		.amdhsa_user_sgpr_private_segment_size 0
		.amdhsa_uses_dynamic_stack 0
		.amdhsa_system_sgpr_private_segment_wavefront_offset 0
		.amdhsa_system_sgpr_workgroup_id_x 1
		.amdhsa_system_sgpr_workgroup_id_y 0
		.amdhsa_system_sgpr_workgroup_id_z 0
		.amdhsa_system_sgpr_workgroup_info 0
		.amdhsa_system_vgpr_workitem_id 0
		.amdhsa_next_free_vgpr 8
		.amdhsa_next_free_sgpr 18
		.amdhsa_accum_offset 8
		.amdhsa_reserve_vcc 1
		.amdhsa_reserve_flat_scratch 0
		.amdhsa_float_round_mode_32 0
		.amdhsa_float_round_mode_16_64 0
		.amdhsa_float_denorm_mode_32 3
		.amdhsa_float_denorm_mode_16_64 3
		.amdhsa_dx10_clamp 1
		.amdhsa_ieee_mode 1
		.amdhsa_fp16_overflow 0
		.amdhsa_tg_split 0
		.amdhsa_exception_fp_ieee_invalid_op 0
		.amdhsa_exception_fp_denorm_src 0
		.amdhsa_exception_fp_ieee_div_zero 0
		.amdhsa_exception_fp_ieee_overflow 0
		.amdhsa_exception_fp_ieee_underflow 0
		.amdhsa_exception_fp_ieee_inexact 0
		.amdhsa_exception_int_div_zero 0
	.end_amdhsa_kernel
	.section	.text._ZN5aiter22opus_moe_sorting_entryINS_32MoeSortingMultiPhaseKernel_P0_v1INS_19MoeSortingProblemMpIifiLi1ELb1ELb1ELb1EEEEENS4_5KargsEEEvT0_,"axG",@progbits,_ZN5aiter22opus_moe_sorting_entryINS_32MoeSortingMultiPhaseKernel_P0_v1INS_19MoeSortingProblemMpIifiLi1ELb1ELb1ELb1EEEEENS4_5KargsEEEvT0_,comdat
.Lfunc_end67:
	.size	_ZN5aiter22opus_moe_sorting_entryINS_32MoeSortingMultiPhaseKernel_P0_v1INS_19MoeSortingProblemMpIifiLi1ELb1ELb1ELb1EEEEENS4_5KargsEEEvT0_, .Lfunc_end67-_ZN5aiter22opus_moe_sorting_entryINS_32MoeSortingMultiPhaseKernel_P0_v1INS_19MoeSortingProblemMpIifiLi1ELb1ELb1ELb1EEEEENS4_5KargsEEEvT0_
                                        ; -- End function
	.section	.AMDGPU.csdata,"",@progbits
; Kernel info:
; codeLenInByte = 304
; NumSgprs: 22
; NumVgprs: 8
; NumAgprs: 0
; TotalNumVgprs: 8
; ScratchSize: 0
; MemoryBound: 0
; FloatMode: 240
; IeeeMode: 1
; LDSByteSize: 0 bytes/workgroup (compile time only)
; SGPRBlocks: 2
; VGPRBlocks: 0
; NumSGPRsForWavesPerEU: 22
; NumVGPRsForWavesPerEU: 8
; AccumOffset: 8
; Occupancy: 8
; WaveLimiterHint : 1
; COMPUTE_PGM_RSRC2:SCRATCH_EN: 0
; COMPUTE_PGM_RSRC2:USER_SGPR: 6
; COMPUTE_PGM_RSRC2:TRAP_HANDLER: 0
; COMPUTE_PGM_RSRC2:TGID_X_EN: 1
; COMPUTE_PGM_RSRC2:TGID_Y_EN: 0
; COMPUTE_PGM_RSRC2:TGID_Z_EN: 0
; COMPUTE_PGM_RSRC2:TIDIG_COMP_CNT: 0
; COMPUTE_PGM_RSRC3_GFX90A:ACCUM_OFFSET: 1
; COMPUTE_PGM_RSRC3_GFX90A:TG_SPLIT: 0
	.section	.text._ZN5aiter22opus_moe_sorting_entryINS_29MoeSortingMultiPhaseKernel_P1INS_19MoeSortingProblemMpIifiLi1ELb1ELb1ELb1EEEEENS4_5KargsEEEvT0_,"axG",@progbits,_ZN5aiter22opus_moe_sorting_entryINS_29MoeSortingMultiPhaseKernel_P1INS_19MoeSortingProblemMpIifiLi1ELb1ELb1ELb1EEEEENS4_5KargsEEEvT0_,comdat
	.protected	_ZN5aiter22opus_moe_sorting_entryINS_29MoeSortingMultiPhaseKernel_P1INS_19MoeSortingProblemMpIifiLi1ELb1ELb1ELb1EEEEENS4_5KargsEEEvT0_ ; -- Begin function _ZN5aiter22opus_moe_sorting_entryINS_29MoeSortingMultiPhaseKernel_P1INS_19MoeSortingProblemMpIifiLi1ELb1ELb1ELb1EEEEENS4_5KargsEEEvT0_
	.globl	_ZN5aiter22opus_moe_sorting_entryINS_29MoeSortingMultiPhaseKernel_P1INS_19MoeSortingProblemMpIifiLi1ELb1ELb1ELb1EEEEENS4_5KargsEEEvT0_
	.p2align	8
	.type	_ZN5aiter22opus_moe_sorting_entryINS_29MoeSortingMultiPhaseKernel_P1INS_19MoeSortingProblemMpIifiLi1ELb1ELb1ELb1EEEEENS4_5KargsEEEvT0_,@function
_ZN5aiter22opus_moe_sorting_entryINS_29MoeSortingMultiPhaseKernel_P1INS_19MoeSortingProblemMpIifiLi1ELb1ELb1ELb1EEEEENS4_5KargsEEEvT0_: ; @_ZN5aiter22opus_moe_sorting_entryINS_29MoeSortingMultiPhaseKernel_P1INS_19MoeSortingProblemMpIifiLi1ELb1ELb1ELb1EEEEENS4_5KargsEEEvT0_
; %bb.0:
	s_load_dwordx8 s[8:15], s[4:5], 0x0
	s_ashr_i32 s7, s6, 31
	s_lshl_b64 s[2:3], s[6:7], 2
	s_waitcnt lgkmcnt(0)
	s_add_u32 s0, s8, s2
	s_addc_u32 s1, s9, s3
	s_load_dword s0, s[0:1], 0x0
	s_waitcnt lgkmcnt(0)
	s_cmp_eq_u32 s0, 0
	s_cbranch_scc1 .LBB68_11
; %bb.1:
	s_load_dword s0, s[10:11], 0x0
	s_waitcnt lgkmcnt(0)
	s_cmp_lt_i32 s0, 1
	s_cbranch_scc1 .LBB68_6
; %bb.2:
	s_add_i32 s0, s0, 31
	s_ashr_i32 s1, s0, 31
	s_lshr_b32 s1, s1, 27
	s_add_i32 s4, s0, s1
	s_andn2_b32 s4, s4, 31
	s_mul_i32 s0, s4, s6
	s_ashr_i32 s1, s0, 31
	s_lshl_b64 s[0:1], s[0:1], 2
	s_add_u32 s5, s12, s0
	s_addc_u32 s6, s13, s1
	s_add_i32 s0, s4, 0xff
	s_ashr_i32 s1, s0, 31
	s_lshr_b32 s1, s1, 24
	v_mbcnt_lo_u32_b32 v2, -1, 0
	s_add_i32 s0, s0, s1
	v_mbcnt_hi_u32_b32 v2, -1, v2
	s_ashr_i32 s0, s0, 8
	v_lshlrev_b32_e32 v2, 2, v2
	v_mov_b32_e32 v1, 0
	v_xor_b32_e32 v4, 4, v2
	v_xor_b32_e32 v5, 8, v2
	;; [unrolled: 1-line block ×6, first 2 shown]
	s_max_i32 s7, s0, 1
	v_mov_b32_e32 v2, v0
	s_branch .LBB68_4
.LBB68_3:                               ;   in Loop: Header=BB68_4 Depth=1
	s_or_b64 exec, exec, s[0:1]
	s_waitcnt vmcnt(0)
	v_cmp_ne_u32_e32 vcc, 0, v3
	v_cndmask_b32_e64 v3, 0, 1, vcc
	ds_bpermute_b32 v3, v4, v3
	s_add_i32 s7, s7, -1
	s_cmp_eq_u32 s7, 0
	v_add_u32_e32 v2, 0x100, v2
	s_waitcnt lgkmcnt(0)
	v_addc_co_u32_e64 v10, s[0:1], 0, v3, vcc
	ds_bpermute_b32 v10, v5, v10
	s_waitcnt lgkmcnt(0)
	v_addc_co_u32_e32 v3, vcc, v10, v3, vcc
	ds_bpermute_b32 v10, v6, v3
	s_waitcnt lgkmcnt(0)
	v_add_u32_e32 v3, v3, v10
	ds_bpermute_b32 v10, v7, v3
	s_waitcnt lgkmcnt(0)
	v_add_u32_e32 v3, v3, v10
	;; [unrolled: 3-line block ×3, first 2 shown]
	ds_bpermute_b32 v10, v9, v3
	s_waitcnt lgkmcnt(0)
	v_add3_u32 v1, v10, v1, v3
	s_cbranch_scc1 .LBB68_7
.LBB68_4:                               ; =>This Inner Loop Header: Depth=1
	v_cmp_gt_i32_e32 vcc, s4, v2
	v_mov_b32_e32 v3, 0
	s_and_saveexec_b64 s[0:1], vcc
	s_cbranch_execz .LBB68_3
; %bb.5:                                ;   in Loop: Header=BB68_4 Depth=1
	v_ashrrev_i32_e32 v3, 31, v2
	v_lshlrev_b64 v[10:11], 2, v[2:3]
	v_mov_b32_e32 v3, s6
	v_add_co_u32_e32 v10, vcc, s5, v10
	v_addc_co_u32_e32 v11, vcc, v3, v11, vcc
	global_load_dword v3, v[10:11], off
	s_branch .LBB68_3
.LBB68_6:
	v_mov_b32_e32 v1, 0
.LBB68_7:
	v_and_b32_e32 v2, 63, v0
	v_cmp_eq_u32_e32 vcc, 0, v2
	s_and_saveexec_b64 s[0:1], vcc
	s_cbranch_execz .LBB68_9
; %bb.8:
	v_lshrrev_b32_e32 v2, 4, v0
	ds_write_b32 v2, v1
.LBB68_9:
	s_or_b64 exec, exec, s[0:1]
	v_cmp_eq_u32_e32 vcc, 0, v0
	s_waitcnt lgkmcnt(0)
	s_barrier
	s_and_saveexec_b64 s[0:1], vcc
	s_cbranch_execz .LBB68_11
; %bb.10:
	v_mov_b32_e32 v4, 0
	ds_read_b128 v[0:3], v4
	s_add_u32 s0, s14, s2
	s_addc_u32 s1, s15, s3
	s_waitcnt lgkmcnt(0)
	v_add_u32_e32 v0, v1, v0
	v_add_u32_e32 v0, v0, v2
	;; [unrolled: 1-line block ×3, first 2 shown]
	global_store_dword v4, v0, s[0:1]
.LBB68_11:
	s_endpgm
	.section	.rodata,"a",@progbits
	.p2align	6, 0x0
	.amdhsa_kernel _ZN5aiter22opus_moe_sorting_entryINS_29MoeSortingMultiPhaseKernel_P1INS_19MoeSortingProblemMpIifiLi1ELb1ELb1ELb1EEEEENS4_5KargsEEEvT0_
		.amdhsa_group_segment_fixed_size 16
		.amdhsa_private_segment_fixed_size 0
		.amdhsa_kernarg_size 40
		.amdhsa_user_sgpr_count 6
		.amdhsa_user_sgpr_private_segment_buffer 1
		.amdhsa_user_sgpr_dispatch_ptr 0
		.amdhsa_user_sgpr_queue_ptr 0
		.amdhsa_user_sgpr_kernarg_segment_ptr 1
		.amdhsa_user_sgpr_dispatch_id 0
		.amdhsa_user_sgpr_flat_scratch_init 0
		.amdhsa_user_sgpr_kernarg_preload_length 0
		.amdhsa_user_sgpr_kernarg_preload_offset 0
		.amdhsa_user_sgpr_private_segment_size 0
		.amdhsa_uses_dynamic_stack 0
		.amdhsa_system_sgpr_private_segment_wavefront_offset 0
		.amdhsa_system_sgpr_workgroup_id_x 1
		.amdhsa_system_sgpr_workgroup_id_y 0
		.amdhsa_system_sgpr_workgroup_id_z 0
		.amdhsa_system_sgpr_workgroup_info 0
		.amdhsa_system_vgpr_workitem_id 0
		.amdhsa_next_free_vgpr 12
		.amdhsa_next_free_sgpr 16
		.amdhsa_accum_offset 12
		.amdhsa_reserve_vcc 1
		.amdhsa_reserve_flat_scratch 0
		.amdhsa_float_round_mode_32 0
		.amdhsa_float_round_mode_16_64 0
		.amdhsa_float_denorm_mode_32 3
		.amdhsa_float_denorm_mode_16_64 3
		.amdhsa_dx10_clamp 1
		.amdhsa_ieee_mode 1
		.amdhsa_fp16_overflow 0
		.amdhsa_tg_split 0
		.amdhsa_exception_fp_ieee_invalid_op 0
		.amdhsa_exception_fp_denorm_src 0
		.amdhsa_exception_fp_ieee_div_zero 0
		.amdhsa_exception_fp_ieee_overflow 0
		.amdhsa_exception_fp_ieee_underflow 0
		.amdhsa_exception_fp_ieee_inexact 0
		.amdhsa_exception_int_div_zero 0
	.end_amdhsa_kernel
	.section	.text._ZN5aiter22opus_moe_sorting_entryINS_29MoeSortingMultiPhaseKernel_P1INS_19MoeSortingProblemMpIifiLi1ELb1ELb1ELb1EEEEENS4_5KargsEEEvT0_,"axG",@progbits,_ZN5aiter22opus_moe_sorting_entryINS_29MoeSortingMultiPhaseKernel_P1INS_19MoeSortingProblemMpIifiLi1ELb1ELb1ELb1EEEEENS4_5KargsEEEvT0_,comdat
.Lfunc_end68:
	.size	_ZN5aiter22opus_moe_sorting_entryINS_29MoeSortingMultiPhaseKernel_P1INS_19MoeSortingProblemMpIifiLi1ELb1ELb1ELb1EEEEENS4_5KargsEEEvT0_, .Lfunc_end68-_ZN5aiter22opus_moe_sorting_entryINS_29MoeSortingMultiPhaseKernel_P1INS_19MoeSortingProblemMpIifiLi1ELb1ELb1ELb1EEEEENS4_5KargsEEEvT0_
                                        ; -- End function
	.section	.AMDGPU.csdata,"",@progbits
; Kernel info:
; codeLenInByte = 496
; NumSgprs: 20
; NumVgprs: 12
; NumAgprs: 0
; TotalNumVgprs: 12
; ScratchSize: 0
; MemoryBound: 0
; FloatMode: 240
; IeeeMode: 1
; LDSByteSize: 16 bytes/workgroup (compile time only)
; SGPRBlocks: 2
; VGPRBlocks: 1
; NumSGPRsForWavesPerEU: 20
; NumVGPRsForWavesPerEU: 12
; AccumOffset: 12
; Occupancy: 8
; WaveLimiterHint : 1
; COMPUTE_PGM_RSRC2:SCRATCH_EN: 0
; COMPUTE_PGM_RSRC2:USER_SGPR: 6
; COMPUTE_PGM_RSRC2:TRAP_HANDLER: 0
; COMPUTE_PGM_RSRC2:TGID_X_EN: 1
; COMPUTE_PGM_RSRC2:TGID_Y_EN: 0
; COMPUTE_PGM_RSRC2:TGID_Z_EN: 0
; COMPUTE_PGM_RSRC2:TIDIG_COMP_CNT: 0
; COMPUTE_PGM_RSRC3_GFX90A:ACCUM_OFFSET: 2
; COMPUTE_PGM_RSRC3_GFX90A:TG_SPLIT: 0
	.section	.text._ZN5aiter22opus_moe_sorting_entryINS_32MoeSortingMultiPhaseKernel_P0_v1INS_19MoeSortingProblemMpIifiLi1ELb1ELb0ELb1EEEEENS4_5KargsEEEvT0_,"axG",@progbits,_ZN5aiter22opus_moe_sorting_entryINS_32MoeSortingMultiPhaseKernel_P0_v1INS_19MoeSortingProblemMpIifiLi1ELb1ELb0ELb1EEEEENS4_5KargsEEEvT0_,comdat
	.protected	_ZN5aiter22opus_moe_sorting_entryINS_32MoeSortingMultiPhaseKernel_P0_v1INS_19MoeSortingProblemMpIifiLi1ELb1ELb0ELb1EEEEENS4_5KargsEEEvT0_ ; -- Begin function _ZN5aiter22opus_moe_sorting_entryINS_32MoeSortingMultiPhaseKernel_P0_v1INS_19MoeSortingProblemMpIifiLi1ELb1ELb0ELb1EEEEENS4_5KargsEEEvT0_
	.globl	_ZN5aiter22opus_moe_sorting_entryINS_32MoeSortingMultiPhaseKernel_P0_v1INS_19MoeSortingProblemMpIifiLi1ELb1ELb0ELb1EEEEENS4_5KargsEEEvT0_
	.p2align	8
	.type	_ZN5aiter22opus_moe_sorting_entryINS_32MoeSortingMultiPhaseKernel_P0_v1INS_19MoeSortingProblemMpIifiLi1ELb1ELb0ELb1EEEEENS4_5KargsEEEvT0_,@function
_ZN5aiter22opus_moe_sorting_entryINS_32MoeSortingMultiPhaseKernel_P0_v1INS_19MoeSortingProblemMpIifiLi1ELb1ELb0ELb1EEEEENS4_5KargsEEEvT0_: ; @_ZN5aiter22opus_moe_sorting_entryINS_32MoeSortingMultiPhaseKernel_P0_v1INS_19MoeSortingProblemMpIifiLi1ELb1ELb0ELb1EEEEENS4_5KargsEEEvT0_
; %bb.0:
	s_load_dwordx4 s[0:3], s[4:5], 0x18
	v_lshl_add_u32 v0, s6, 8, v0
	s_waitcnt lgkmcnt(0)
	s_mul_i32 s0, s3, s0
	v_cmp_gt_i32_e32 vcc, s0, v0
	s_and_saveexec_b64 s[6:7], vcc
	s_cbranch_execz .LBB69_5
; %bb.1:
	s_load_dword s12, s[4:5], 0x30
	s_load_dwordx2 s[6:7], s[4:5], 0x0
	s_load_dwordx2 s[8:9], s[4:5], 0x10
	;; [unrolled: 1-line block ×3, first 2 shown]
	s_sub_i32 s3, 0, s3
	s_waitcnt lgkmcnt(0)
	s_lshl_b32 s14, s12, 8
	s_mov_b64 s[4:5], 0
	v_mov_b32_e32 v2, s7
	v_mov_b32_e32 v3, 0
	s_branch .LBB69_3
.LBB69_2:                               ;   in Loop: Header=BB69_3 Depth=1
	s_or_b64 exec, exec, s[12:13]
	v_add_u32_e32 v0, s14, v0
	v_cmp_le_i32_e32 vcc, s0, v0
	s_or_b64 s[4:5], vcc, s[4:5]
	s_andn2_b64 exec, exec, s[4:5]
	s_cbranch_execz .LBB69_5
.LBB69_3:                               ; =>This Inner Loop Header: Depth=1
	v_ashrrev_i32_e32 v1, 31, v0
	v_lshlrev_b64 v[4:5], 2, v[0:1]
	v_add_co_u32_e32 v4, vcc, s6, v4
	v_addc_co_u32_e32 v5, vcc, v2, v5, vcc
	global_load_dword v1, v[4:5], off
	s_waitcnt vmcnt(0)
	v_cmp_gt_i32_e32 vcc, s1, v1
	s_and_saveexec_b64 s[12:13], vcc
	s_cbranch_execz .LBB69_2
; %bb.4:                                ;   in Loop: Header=BB69_3 Depth=1
	v_mul_hi_u32 v4, s10, v0
	v_add_u32_e32 v4, v0, v4
	v_lshrrev_b32_e32 v4, s11, v4
	v_mul_lo_u32 v5, s3, v4
	v_add3_u32 v5, v0, v5, 1
	v_and_b32_e32 v6, 0xffff, v5
	v_mad_u64_u32 v[4:5], s[16:17], v1, s2, v[4:5]
	v_mov_b32_e32 v5, v3
	v_lshlrev_b64 v[4:5], 2, v[4:5]
	v_mov_b32_e32 v1, s9
	v_add_co_u32_e32 v4, vcc, s8, v4
	v_addc_co_u32_e32 v5, vcc, v1, v5, vcc
	global_store_dword v[4:5], v6, off
	s_branch .LBB69_2
.LBB69_5:
	s_endpgm
	.section	.rodata,"a",@progbits
	.p2align	6, 0x0
	.amdhsa_kernel _ZN5aiter22opus_moe_sorting_entryINS_32MoeSortingMultiPhaseKernel_P0_v1INS_19MoeSortingProblemMpIifiLi1ELb1ELb0ELb1EEEEENS4_5KargsEEEvT0_
		.amdhsa_group_segment_fixed_size 0
		.amdhsa_private_segment_fixed_size 0
		.amdhsa_kernarg_size 304
		.amdhsa_user_sgpr_count 6
		.amdhsa_user_sgpr_private_segment_buffer 1
		.amdhsa_user_sgpr_dispatch_ptr 0
		.amdhsa_user_sgpr_queue_ptr 0
		.amdhsa_user_sgpr_kernarg_segment_ptr 1
		.amdhsa_user_sgpr_dispatch_id 0
		.amdhsa_user_sgpr_flat_scratch_init 0
		.amdhsa_user_sgpr_kernarg_preload_length 0
		.amdhsa_user_sgpr_kernarg_preload_offset 0
		.amdhsa_user_sgpr_private_segment_size 0
		.amdhsa_uses_dynamic_stack 0
		.amdhsa_system_sgpr_private_segment_wavefront_offset 0
		.amdhsa_system_sgpr_workgroup_id_x 1
		.amdhsa_system_sgpr_workgroup_id_y 0
		.amdhsa_system_sgpr_workgroup_id_z 0
		.amdhsa_system_sgpr_workgroup_info 0
		.amdhsa_system_vgpr_workitem_id 0
		.amdhsa_next_free_vgpr 7
		.amdhsa_next_free_sgpr 18
		.amdhsa_accum_offset 8
		.amdhsa_reserve_vcc 1
		.amdhsa_reserve_flat_scratch 0
		.amdhsa_float_round_mode_32 0
		.amdhsa_float_round_mode_16_64 0
		.amdhsa_float_denorm_mode_32 3
		.amdhsa_float_denorm_mode_16_64 3
		.amdhsa_dx10_clamp 1
		.amdhsa_ieee_mode 1
		.amdhsa_fp16_overflow 0
		.amdhsa_tg_split 0
		.amdhsa_exception_fp_ieee_invalid_op 0
		.amdhsa_exception_fp_denorm_src 0
		.amdhsa_exception_fp_ieee_div_zero 0
		.amdhsa_exception_fp_ieee_overflow 0
		.amdhsa_exception_fp_ieee_underflow 0
		.amdhsa_exception_fp_ieee_inexact 0
		.amdhsa_exception_int_div_zero 0
	.end_amdhsa_kernel
	.section	.text._ZN5aiter22opus_moe_sorting_entryINS_32MoeSortingMultiPhaseKernel_P0_v1INS_19MoeSortingProblemMpIifiLi1ELb1ELb0ELb1EEEEENS4_5KargsEEEvT0_,"axG",@progbits,_ZN5aiter22opus_moe_sorting_entryINS_32MoeSortingMultiPhaseKernel_P0_v1INS_19MoeSortingProblemMpIifiLi1ELb1ELb0ELb1EEEEENS4_5KargsEEEvT0_,comdat
.Lfunc_end69:
	.size	_ZN5aiter22opus_moe_sorting_entryINS_32MoeSortingMultiPhaseKernel_P0_v1INS_19MoeSortingProblemMpIifiLi1ELb1ELb0ELb1EEEEENS4_5KargsEEEvT0_, .Lfunc_end69-_ZN5aiter22opus_moe_sorting_entryINS_32MoeSortingMultiPhaseKernel_P0_v1INS_19MoeSortingProblemMpIifiLi1ELb1ELb0ELb1EEEEENS4_5KargsEEEvT0_
                                        ; -- End function
	.section	.AMDGPU.csdata,"",@progbits
; Kernel info:
; codeLenInByte = 252
; NumSgprs: 22
; NumVgprs: 7
; NumAgprs: 0
; TotalNumVgprs: 7
; ScratchSize: 0
; MemoryBound: 0
; FloatMode: 240
; IeeeMode: 1
; LDSByteSize: 0 bytes/workgroup (compile time only)
; SGPRBlocks: 2
; VGPRBlocks: 0
; NumSGPRsForWavesPerEU: 22
; NumVGPRsForWavesPerEU: 7
; AccumOffset: 8
; Occupancy: 8
; WaveLimiterHint : 1
; COMPUTE_PGM_RSRC2:SCRATCH_EN: 0
; COMPUTE_PGM_RSRC2:USER_SGPR: 6
; COMPUTE_PGM_RSRC2:TRAP_HANDLER: 0
; COMPUTE_PGM_RSRC2:TGID_X_EN: 1
; COMPUTE_PGM_RSRC2:TGID_Y_EN: 0
; COMPUTE_PGM_RSRC2:TGID_Z_EN: 0
; COMPUTE_PGM_RSRC2:TIDIG_COMP_CNT: 0
; COMPUTE_PGM_RSRC3_GFX90A:ACCUM_OFFSET: 1
; COMPUTE_PGM_RSRC3_GFX90A:TG_SPLIT: 0
	.section	.text._ZN5aiter22opus_moe_sorting_entryINS_29MoeSortingMultiPhaseKernel_P1INS_19MoeSortingProblemMpIifiLi1ELb1ELb0ELb1EEEEENS4_5KargsEEEvT0_,"axG",@progbits,_ZN5aiter22opus_moe_sorting_entryINS_29MoeSortingMultiPhaseKernel_P1INS_19MoeSortingProblemMpIifiLi1ELb1ELb0ELb1EEEEENS4_5KargsEEEvT0_,comdat
	.protected	_ZN5aiter22opus_moe_sorting_entryINS_29MoeSortingMultiPhaseKernel_P1INS_19MoeSortingProblemMpIifiLi1ELb1ELb0ELb1EEEEENS4_5KargsEEEvT0_ ; -- Begin function _ZN5aiter22opus_moe_sorting_entryINS_29MoeSortingMultiPhaseKernel_P1INS_19MoeSortingProblemMpIifiLi1ELb1ELb0ELb1EEEEENS4_5KargsEEEvT0_
	.globl	_ZN5aiter22opus_moe_sorting_entryINS_29MoeSortingMultiPhaseKernel_P1INS_19MoeSortingProblemMpIifiLi1ELb1ELb0ELb1EEEEENS4_5KargsEEEvT0_
	.p2align	8
	.type	_ZN5aiter22opus_moe_sorting_entryINS_29MoeSortingMultiPhaseKernel_P1INS_19MoeSortingProblemMpIifiLi1ELb1ELb0ELb1EEEEENS4_5KargsEEEvT0_,@function
_ZN5aiter22opus_moe_sorting_entryINS_29MoeSortingMultiPhaseKernel_P1INS_19MoeSortingProblemMpIifiLi1ELb1ELb0ELb1EEEEENS4_5KargsEEEvT0_: ; @_ZN5aiter22opus_moe_sorting_entryINS_29MoeSortingMultiPhaseKernel_P1INS_19MoeSortingProblemMpIifiLi1ELb1ELb0ELb1EEEEENS4_5KargsEEEvT0_
; %bb.0:
	s_load_dwordx2 s[0:1], s[4:5], 0x0
	s_ashr_i32 s7, s6, 31
	s_lshl_b64 s[8:9], s[6:7], 2
	s_waitcnt lgkmcnt(0)
	s_add_u32 s0, s0, s8
	s_addc_u32 s1, s1, s9
	s_load_dword s0, s[0:1], 0x0
	s_waitcnt lgkmcnt(0)
	s_cmp_eq_u32 s0, 0
	s_cbranch_scc1 .LBB70_11
; %bb.1:
	s_load_dword s7, s[4:5], 0x20
	s_load_dwordx4 s[0:3], s[4:5], 0x10
	s_waitcnt lgkmcnt(0)
	s_cmp_lt_i32 s7, 1
	s_cbranch_scc1 .LBB70_6
; %bb.2:
	s_mul_i32 s4, s7, s6
	s_ashr_i32 s5, s4, 31
	s_lshl_b64 s[4:5], s[4:5], 2
	s_add_u32 s4, s0, s4
	s_addc_u32 s5, s1, s5
	s_add_i32 s0, s7, 0xff
	s_ashr_i32 s1, s0, 31
	s_lshr_b32 s1, s1, 24
	v_mbcnt_lo_u32_b32 v2, -1, 0
	s_add_i32 s0, s0, s1
	v_mbcnt_hi_u32_b32 v2, -1, v2
	s_ashr_i32 s0, s0, 8
	v_lshlrev_b32_e32 v2, 2, v2
	v_mov_b32_e32 v1, 0
	v_xor_b32_e32 v4, 4, v2
	v_xor_b32_e32 v5, 8, v2
	;; [unrolled: 1-line block ×6, first 2 shown]
	s_max_i32 s6, s0, 1
	v_mov_b32_e32 v2, v0
	s_branch .LBB70_4
.LBB70_3:                               ;   in Loop: Header=BB70_4 Depth=1
	s_or_b64 exec, exec, s[0:1]
	s_waitcnt vmcnt(0)
	v_cmp_ne_u32_e32 vcc, 0, v3
	v_cndmask_b32_e64 v3, 0, 1, vcc
	ds_bpermute_b32 v3, v4, v3
	s_add_i32 s6, s6, -1
	s_cmp_eq_u32 s6, 0
	v_add_u32_e32 v2, 0x100, v2
	s_waitcnt lgkmcnt(0)
	v_addc_co_u32_e64 v10, s[0:1], 0, v3, vcc
	ds_bpermute_b32 v10, v5, v10
	s_waitcnt lgkmcnt(0)
	v_addc_co_u32_e32 v3, vcc, v10, v3, vcc
	ds_bpermute_b32 v10, v6, v3
	s_waitcnt lgkmcnt(0)
	v_add_u32_e32 v3, v3, v10
	ds_bpermute_b32 v10, v7, v3
	s_waitcnt lgkmcnt(0)
	v_add_u32_e32 v3, v3, v10
	;; [unrolled: 3-line block ×3, first 2 shown]
	ds_bpermute_b32 v10, v9, v3
	s_waitcnt lgkmcnt(0)
	v_add3_u32 v1, v10, v1, v3
	s_cbranch_scc1 .LBB70_7
.LBB70_4:                               ; =>This Inner Loop Header: Depth=1
	v_cmp_gt_i32_e32 vcc, s7, v2
	v_mov_b32_e32 v3, 0
	s_and_saveexec_b64 s[0:1], vcc
	s_cbranch_execz .LBB70_3
; %bb.5:                                ;   in Loop: Header=BB70_4 Depth=1
	v_ashrrev_i32_e32 v3, 31, v2
	v_lshlrev_b64 v[10:11], 2, v[2:3]
	v_mov_b32_e32 v3, s5
	v_add_co_u32_e32 v10, vcc, s4, v10
	v_addc_co_u32_e32 v11, vcc, v3, v11, vcc
	global_load_dword v3, v[10:11], off
	s_branch .LBB70_3
.LBB70_6:
	v_mov_b32_e32 v1, 0
.LBB70_7:
	v_and_b32_e32 v2, 63, v0
	v_cmp_eq_u32_e32 vcc, 0, v2
	s_and_saveexec_b64 s[0:1], vcc
	s_cbranch_execz .LBB70_9
; %bb.8:
	v_lshrrev_b32_e32 v2, 4, v0
	ds_write_b32 v2, v1
.LBB70_9:
	s_or_b64 exec, exec, s[0:1]
	v_cmp_eq_u32_e32 vcc, 0, v0
	s_waitcnt lgkmcnt(0)
	s_barrier
	s_and_saveexec_b64 s[0:1], vcc
	s_cbranch_execz .LBB70_11
; %bb.10:
	v_mov_b32_e32 v4, 0
	ds_read_b128 v[0:3], v4
	s_add_u32 s0, s2, s8
	s_addc_u32 s1, s3, s9
	s_waitcnt lgkmcnt(0)
	v_add_u32_e32 v0, v1, v0
	v_add_u32_e32 v0, v0, v2
	;; [unrolled: 1-line block ×3, first 2 shown]
	global_store_dword v4, v0, s[0:1]
.LBB70_11:
	s_endpgm
	.section	.rodata,"a",@progbits
	.p2align	6, 0x0
	.amdhsa_kernel _ZN5aiter22opus_moe_sorting_entryINS_29MoeSortingMultiPhaseKernel_P1INS_19MoeSortingProblemMpIifiLi1ELb1ELb0ELb1EEEEENS4_5KargsEEEvT0_
		.amdhsa_group_segment_fixed_size 16
		.amdhsa_private_segment_fixed_size 0
		.amdhsa_kernarg_size 40
		.amdhsa_user_sgpr_count 6
		.amdhsa_user_sgpr_private_segment_buffer 1
		.amdhsa_user_sgpr_dispatch_ptr 0
		.amdhsa_user_sgpr_queue_ptr 0
		.amdhsa_user_sgpr_kernarg_segment_ptr 1
		.amdhsa_user_sgpr_dispatch_id 0
		.amdhsa_user_sgpr_flat_scratch_init 0
		.amdhsa_user_sgpr_kernarg_preload_length 0
		.amdhsa_user_sgpr_kernarg_preload_offset 0
		.amdhsa_user_sgpr_private_segment_size 0
		.amdhsa_uses_dynamic_stack 0
		.amdhsa_system_sgpr_private_segment_wavefront_offset 0
		.amdhsa_system_sgpr_workgroup_id_x 1
		.amdhsa_system_sgpr_workgroup_id_y 0
		.amdhsa_system_sgpr_workgroup_id_z 0
		.amdhsa_system_sgpr_workgroup_info 0
		.amdhsa_system_vgpr_workitem_id 0
		.amdhsa_next_free_vgpr 12
		.amdhsa_next_free_sgpr 10
		.amdhsa_accum_offset 12
		.amdhsa_reserve_vcc 1
		.amdhsa_reserve_flat_scratch 0
		.amdhsa_float_round_mode_32 0
		.amdhsa_float_round_mode_16_64 0
		.amdhsa_float_denorm_mode_32 3
		.amdhsa_float_denorm_mode_16_64 3
		.amdhsa_dx10_clamp 1
		.amdhsa_ieee_mode 1
		.amdhsa_fp16_overflow 0
		.amdhsa_tg_split 0
		.amdhsa_exception_fp_ieee_invalid_op 0
		.amdhsa_exception_fp_denorm_src 0
		.amdhsa_exception_fp_ieee_div_zero 0
		.amdhsa_exception_fp_ieee_overflow 0
		.amdhsa_exception_fp_ieee_underflow 0
		.amdhsa_exception_fp_ieee_inexact 0
		.amdhsa_exception_int_div_zero 0
	.end_amdhsa_kernel
	.section	.text._ZN5aiter22opus_moe_sorting_entryINS_29MoeSortingMultiPhaseKernel_P1INS_19MoeSortingProblemMpIifiLi1ELb1ELb0ELb1EEEEENS4_5KargsEEEvT0_,"axG",@progbits,_ZN5aiter22opus_moe_sorting_entryINS_29MoeSortingMultiPhaseKernel_P1INS_19MoeSortingProblemMpIifiLi1ELb1ELb0ELb1EEEEENS4_5KargsEEEvT0_,comdat
.Lfunc_end70:
	.size	_ZN5aiter22opus_moe_sorting_entryINS_29MoeSortingMultiPhaseKernel_P1INS_19MoeSortingProblemMpIifiLi1ELb1ELb0ELb1EEEEENS4_5KargsEEEvT0_, .Lfunc_end70-_ZN5aiter22opus_moe_sorting_entryINS_29MoeSortingMultiPhaseKernel_P1INS_19MoeSortingProblemMpIifiLi1ELb1ELb0ELb1EEEEENS4_5KargsEEEvT0_
                                        ; -- End function
	.section	.AMDGPU.csdata,"",@progbits
; Kernel info:
; codeLenInByte = 484
; NumSgprs: 14
; NumVgprs: 12
; NumAgprs: 0
; TotalNumVgprs: 12
; ScratchSize: 0
; MemoryBound: 0
; FloatMode: 240
; IeeeMode: 1
; LDSByteSize: 16 bytes/workgroup (compile time only)
; SGPRBlocks: 1
; VGPRBlocks: 1
; NumSGPRsForWavesPerEU: 14
; NumVGPRsForWavesPerEU: 12
; AccumOffset: 12
; Occupancy: 8
; WaveLimiterHint : 0
; COMPUTE_PGM_RSRC2:SCRATCH_EN: 0
; COMPUTE_PGM_RSRC2:USER_SGPR: 6
; COMPUTE_PGM_RSRC2:TRAP_HANDLER: 0
; COMPUTE_PGM_RSRC2:TGID_X_EN: 1
; COMPUTE_PGM_RSRC2:TGID_Y_EN: 0
; COMPUTE_PGM_RSRC2:TGID_Z_EN: 0
; COMPUTE_PGM_RSRC2:TIDIG_COMP_CNT: 0
; COMPUTE_PGM_RSRC3_GFX90A:ACCUM_OFFSET: 2
; COMPUTE_PGM_RSRC3_GFX90A:TG_SPLIT: 0
	.section	.text._ZN5aiter22opus_moe_sorting_entryINS_32MoeSortingMultiPhaseKernel_P0_v1INS_19MoeSortingProblemMpIifiLi1ELb0ELb1ELb1EEEEENS4_5KargsEEEvT0_,"axG",@progbits,_ZN5aiter22opus_moe_sorting_entryINS_32MoeSortingMultiPhaseKernel_P0_v1INS_19MoeSortingProblemMpIifiLi1ELb0ELb1ELb1EEEEENS4_5KargsEEEvT0_,comdat
	.protected	_ZN5aiter22opus_moe_sorting_entryINS_32MoeSortingMultiPhaseKernel_P0_v1INS_19MoeSortingProblemMpIifiLi1ELb0ELb1ELb1EEEEENS4_5KargsEEEvT0_ ; -- Begin function _ZN5aiter22opus_moe_sorting_entryINS_32MoeSortingMultiPhaseKernel_P0_v1INS_19MoeSortingProblemMpIifiLi1ELb0ELb1ELb1EEEEENS4_5KargsEEEvT0_
	.globl	_ZN5aiter22opus_moe_sorting_entryINS_32MoeSortingMultiPhaseKernel_P0_v1INS_19MoeSortingProblemMpIifiLi1ELb0ELb1ELb1EEEEENS4_5KargsEEEvT0_
	.p2align	8
	.type	_ZN5aiter22opus_moe_sorting_entryINS_32MoeSortingMultiPhaseKernel_P0_v1INS_19MoeSortingProblemMpIifiLi1ELb0ELb1ELb1EEEEENS4_5KargsEEEvT0_,@function
_ZN5aiter22opus_moe_sorting_entryINS_32MoeSortingMultiPhaseKernel_P0_v1INS_19MoeSortingProblemMpIifiLi1ELb0ELb1ELb1EEEEENS4_5KargsEEEvT0_: ; @_ZN5aiter22opus_moe_sorting_entryINS_32MoeSortingMultiPhaseKernel_P0_v1INS_19MoeSortingProblemMpIifiLi1ELb0ELb1ELb1EEEEENS4_5KargsEEEvT0_
; %bb.0:
	s_load_dwordx4 s[8:11], s[4:5], 0x0
	s_load_dword s0, s[4:5], 0x24
	v_lshl_add_u32 v0, s6, 8, v0
	s_waitcnt lgkmcnt(0)
	s_load_dword s10, s[10:11], 0x0
	s_waitcnt lgkmcnt(0)
	s_mul_i32 s11, s10, s0
	v_cmp_gt_i32_e32 vcc, s11, v0
	s_and_saveexec_b64 s[2:3], vcc
	s_cbranch_execz .LBB71_5
; %bb.1:
	s_load_dwordx2 s[2:3], s[4:5], 0x10
	s_load_dword s12, s[4:5], 0x1c
	s_load_dwordx2 s[6:7], s[4:5], 0x28
	s_load_dword s14, s[4:5], 0x30
	s_add_i32 s1, s10, 31
	s_ashr_i32 s4, s1, 31
	s_lshr_b32 s4, s4, 27
	s_add_i32 s13, s1, s4
	s_andn2_b32 s13, s13, 31
	s_waitcnt lgkmcnt(0)
	s_lshl_b32 s14, s14, 8
	s_sub_i32 s15, 0, s0
	s_mov_b64 s[4:5], 0
	v_mov_b32_e32 v3, s9
	v_mov_b32_e32 v4, 0
	s_branch .LBB71_3
.LBB71_2:                               ;   in Loop: Header=BB71_3 Depth=1
	s_or_b64 exec, exec, s[0:1]
	v_add_u32_e32 v0, s14, v0
	v_cmp_le_i32_e32 vcc, s11, v0
	s_or_b64 s[4:5], vcc, s[4:5]
	s_andn2_b64 exec, exec, s[4:5]
	s_cbranch_execz .LBB71_5
.LBB71_3:                               ; =>This Inner Loop Header: Depth=1
	v_ashrrev_i32_e32 v1, 31, v0
	v_lshlrev_b64 v[6:7], 2, v[0:1]
	v_add_co_u32_e32 v6, vcc, s8, v6
	v_addc_co_u32_e32 v7, vcc, v3, v7, vcc
	global_load_dword v1, v[6:7], off
	v_mul_hi_u32 v2, s6, v0
	v_add_u32_e32 v2, v0, v2
	v_lshrrev_b32_e32 v2, s7, v2
	v_cmp_gt_i32_e64 s[0:1], s10, v2
	s_waitcnt vmcnt(0)
	v_cmp_gt_i32_e32 vcc, s12, v1
	s_and_b64 s[16:17], vcc, s[0:1]
	s_and_saveexec_b64 s[0:1], s[16:17]
	s_cbranch_execz .LBB71_2
; %bb.4:                                ;   in Loop: Header=BB71_3 Depth=1
	v_mad_u64_u32 v[6:7], s[16:17], s13, v1, v[2:3]
	v_mov_b32_e32 v7, v4
	v_mul_lo_u32 v5, s15, v2
	v_lshlrev_b64 v[6:7], 2, v[6:7]
	v_add3_u32 v5, v0, v5, 1
	v_mov_b32_e32 v1, s3
	v_add_co_u32_e32 v6, vcc, s2, v6
	v_and_b32_e32 v5, 0xffff, v5
	v_addc_co_u32_e32 v7, vcc, v1, v7, vcc
	global_store_dword v[6:7], v5, off
	s_branch .LBB71_2
.LBB71_5:
	s_endpgm
	.section	.rodata,"a",@progbits
	.p2align	6, 0x0
	.amdhsa_kernel _ZN5aiter22opus_moe_sorting_entryINS_32MoeSortingMultiPhaseKernel_P0_v1INS_19MoeSortingProblemMpIifiLi1ELb0ELb1ELb1EEEEENS4_5KargsEEEvT0_
		.amdhsa_group_segment_fixed_size 0
		.amdhsa_private_segment_fixed_size 0
		.amdhsa_kernarg_size 304
		.amdhsa_user_sgpr_count 6
		.amdhsa_user_sgpr_private_segment_buffer 1
		.amdhsa_user_sgpr_dispatch_ptr 0
		.amdhsa_user_sgpr_queue_ptr 0
		.amdhsa_user_sgpr_kernarg_segment_ptr 1
		.amdhsa_user_sgpr_dispatch_id 0
		.amdhsa_user_sgpr_flat_scratch_init 0
		.amdhsa_user_sgpr_kernarg_preload_length 0
		.amdhsa_user_sgpr_kernarg_preload_offset 0
		.amdhsa_user_sgpr_private_segment_size 0
		.amdhsa_uses_dynamic_stack 0
		.amdhsa_system_sgpr_private_segment_wavefront_offset 0
		.amdhsa_system_sgpr_workgroup_id_x 1
		.amdhsa_system_sgpr_workgroup_id_y 0
		.amdhsa_system_sgpr_workgroup_id_z 0
		.amdhsa_system_sgpr_workgroup_info 0
		.amdhsa_system_vgpr_workitem_id 0
		.amdhsa_next_free_vgpr 8
		.amdhsa_next_free_sgpr 18
		.amdhsa_accum_offset 8
		.amdhsa_reserve_vcc 1
		.amdhsa_reserve_flat_scratch 0
		.amdhsa_float_round_mode_32 0
		.amdhsa_float_round_mode_16_64 0
		.amdhsa_float_denorm_mode_32 3
		.amdhsa_float_denorm_mode_16_64 3
		.amdhsa_dx10_clamp 1
		.amdhsa_ieee_mode 1
		.amdhsa_fp16_overflow 0
		.amdhsa_tg_split 0
		.amdhsa_exception_fp_ieee_invalid_op 0
		.amdhsa_exception_fp_denorm_src 0
		.amdhsa_exception_fp_ieee_div_zero 0
		.amdhsa_exception_fp_ieee_overflow 0
		.amdhsa_exception_fp_ieee_underflow 0
		.amdhsa_exception_fp_ieee_inexact 0
		.amdhsa_exception_int_div_zero 0
	.end_amdhsa_kernel
	.section	.text._ZN5aiter22opus_moe_sorting_entryINS_32MoeSortingMultiPhaseKernel_P0_v1INS_19MoeSortingProblemMpIifiLi1ELb0ELb1ELb1EEEEENS4_5KargsEEEvT0_,"axG",@progbits,_ZN5aiter22opus_moe_sorting_entryINS_32MoeSortingMultiPhaseKernel_P0_v1INS_19MoeSortingProblemMpIifiLi1ELb0ELb1ELb1EEEEENS4_5KargsEEEvT0_,comdat
.Lfunc_end71:
	.size	_ZN5aiter22opus_moe_sorting_entryINS_32MoeSortingMultiPhaseKernel_P0_v1INS_19MoeSortingProblemMpIifiLi1ELb0ELb1ELb1EEEEENS4_5KargsEEEvT0_, .Lfunc_end71-_ZN5aiter22opus_moe_sorting_entryINS_32MoeSortingMultiPhaseKernel_P0_v1INS_19MoeSortingProblemMpIifiLi1ELb0ELb1ELb1EEEEENS4_5KargsEEEvT0_
                                        ; -- End function
	.section	.AMDGPU.csdata,"",@progbits
; Kernel info:
; codeLenInByte = 304
; NumSgprs: 22
; NumVgprs: 8
; NumAgprs: 0
; TotalNumVgprs: 8
; ScratchSize: 0
; MemoryBound: 0
; FloatMode: 240
; IeeeMode: 1
; LDSByteSize: 0 bytes/workgroup (compile time only)
; SGPRBlocks: 2
; VGPRBlocks: 0
; NumSGPRsForWavesPerEU: 22
; NumVGPRsForWavesPerEU: 8
; AccumOffset: 8
; Occupancy: 8
; WaveLimiterHint : 1
; COMPUTE_PGM_RSRC2:SCRATCH_EN: 0
; COMPUTE_PGM_RSRC2:USER_SGPR: 6
; COMPUTE_PGM_RSRC2:TRAP_HANDLER: 0
; COMPUTE_PGM_RSRC2:TGID_X_EN: 1
; COMPUTE_PGM_RSRC2:TGID_Y_EN: 0
; COMPUTE_PGM_RSRC2:TGID_Z_EN: 0
; COMPUTE_PGM_RSRC2:TIDIG_COMP_CNT: 0
; COMPUTE_PGM_RSRC3_GFX90A:ACCUM_OFFSET: 1
; COMPUTE_PGM_RSRC3_GFX90A:TG_SPLIT: 0
	.section	.text._ZN5aiter22opus_moe_sorting_entryINS_29MoeSortingMultiPhaseKernel_P1INS_19MoeSortingProblemMpIifiLi1ELb0ELb1ELb1EEEEENS4_5KargsEEEvT0_,"axG",@progbits,_ZN5aiter22opus_moe_sorting_entryINS_29MoeSortingMultiPhaseKernel_P1INS_19MoeSortingProblemMpIifiLi1ELb0ELb1ELb1EEEEENS4_5KargsEEEvT0_,comdat
	.protected	_ZN5aiter22opus_moe_sorting_entryINS_29MoeSortingMultiPhaseKernel_P1INS_19MoeSortingProblemMpIifiLi1ELb0ELb1ELb1EEEEENS4_5KargsEEEvT0_ ; -- Begin function _ZN5aiter22opus_moe_sorting_entryINS_29MoeSortingMultiPhaseKernel_P1INS_19MoeSortingProblemMpIifiLi1ELb0ELb1ELb1EEEEENS4_5KargsEEEvT0_
	.globl	_ZN5aiter22opus_moe_sorting_entryINS_29MoeSortingMultiPhaseKernel_P1INS_19MoeSortingProblemMpIifiLi1ELb0ELb1ELb1EEEEENS4_5KargsEEEvT0_
	.p2align	8
	.type	_ZN5aiter22opus_moe_sorting_entryINS_29MoeSortingMultiPhaseKernel_P1INS_19MoeSortingProblemMpIifiLi1ELb0ELb1ELb1EEEEENS4_5KargsEEEvT0_,@function
_ZN5aiter22opus_moe_sorting_entryINS_29MoeSortingMultiPhaseKernel_P1INS_19MoeSortingProblemMpIifiLi1ELb0ELb1ELb1EEEEENS4_5KargsEEEvT0_: ; @_ZN5aiter22opus_moe_sorting_entryINS_29MoeSortingMultiPhaseKernel_P1INS_19MoeSortingProblemMpIifiLi1ELb0ELb1ELb1EEEEENS4_5KargsEEEvT0_
; %bb.0:
	s_load_dwordx4 s[0:3], s[4:5], 0x8
	s_load_dwordx2 s[8:9], s[4:5], 0x18
	s_mov_b32 s5, 0
	s_waitcnt lgkmcnt(0)
	s_load_dword s4, s[0:1], 0x0
	s_waitcnt lgkmcnt(0)
	s_cmp_gt_i32 s4, 0
	s_cbranch_scc1 .LBB72_2
; %bb.1:
	v_mov_b32_e32 v1, s5
	s_cbranch_execz .LBB72_3
	s_branch .LBB72_7
.LBB72_2:
                                        ; implicit-def: $sgpr5
	v_mov_b32_e32 v1, s5
.LBB72_3:
	s_add_i32 s0, s4, 31
	s_ashr_i32 s1, s0, 31
	s_lshr_b32 s1, s1, 27
	s_add_i32 s4, s0, s1
	s_andn2_b32 s4, s4, 31
	s_mul_i32 s0, s4, s6
	s_ashr_i32 s1, s0, 31
	s_lshl_b64 s[0:1], s[0:1], 2
	s_add_u32 s2, s2, s0
	v_mbcnt_lo_u32_b32 v2, -1, 0
	s_addc_u32 s3, s3, s1
	s_add_i32 s0, s4, 0xff
	v_mbcnt_hi_u32_b32 v2, -1, v2
	s_lshr_b32 s0, s0, 8
	v_lshlrev_b32_e32 v2, 2, v2
	v_mov_b32_e32 v1, 0
	v_xor_b32_e32 v4, 4, v2
	v_xor_b32_e32 v5, 8, v2
	;; [unrolled: 1-line block ×6, first 2 shown]
	s_max_u32 s5, s0, 1
	v_mov_b32_e32 v2, v0
	s_branch .LBB72_5
.LBB72_4:                               ;   in Loop: Header=BB72_5 Depth=1
	s_or_b64 exec, exec, s[0:1]
	s_waitcnt vmcnt(0)
	v_cmp_ne_u32_e32 vcc, 0, v3
	v_cndmask_b32_e64 v3, 0, 1, vcc
	ds_bpermute_b32 v3, v4, v3
	s_add_i32 s5, s5, -1
	s_cmp_eq_u32 s5, 0
	v_add_u32_e32 v2, 0x100, v2
	s_waitcnt lgkmcnt(0)
	v_addc_co_u32_e64 v10, s[0:1], 0, v3, vcc
	ds_bpermute_b32 v10, v5, v10
	s_waitcnt lgkmcnt(0)
	v_addc_co_u32_e32 v3, vcc, v10, v3, vcc
	ds_bpermute_b32 v10, v6, v3
	s_waitcnt lgkmcnt(0)
	v_add_u32_e32 v3, v3, v10
	ds_bpermute_b32 v10, v7, v3
	s_waitcnt lgkmcnt(0)
	v_add_u32_e32 v3, v3, v10
	;; [unrolled: 3-line block ×3, first 2 shown]
	ds_bpermute_b32 v10, v9, v3
	s_waitcnt lgkmcnt(0)
	v_add3_u32 v1, v10, v1, v3
	s_cbranch_scc1 .LBB72_7
.LBB72_5:                               ; =>This Inner Loop Header: Depth=1
	v_cmp_gt_i32_e32 vcc, s4, v2
	v_mov_b32_e32 v3, 0
	s_and_saveexec_b64 s[0:1], vcc
	s_cbranch_execz .LBB72_4
; %bb.6:                                ;   in Loop: Header=BB72_5 Depth=1
	v_ashrrev_i32_e32 v3, 31, v2
	v_lshlrev_b64 v[10:11], 2, v[2:3]
	v_mov_b32_e32 v3, s3
	v_add_co_u32_e32 v10, vcc, s2, v10
	v_addc_co_u32_e32 v11, vcc, v3, v11, vcc
	global_load_dword v3, v[10:11], off
	s_branch .LBB72_4
.LBB72_7:
	v_and_b32_e32 v2, 63, v0
	v_cmp_eq_u32_e32 vcc, 0, v2
	s_and_saveexec_b64 s[0:1], vcc
	s_cbranch_execz .LBB72_9
; %bb.8:
	v_lshrrev_b32_e32 v2, 4, v0
	ds_write_b32 v2, v1
.LBB72_9:
	s_or_b64 exec, exec, s[0:1]
	v_cmp_eq_u32_e32 vcc, 0, v0
	s_waitcnt lgkmcnt(0)
	s_barrier
	s_and_saveexec_b64 s[0:1], vcc
	s_cbranch_execz .LBB72_11
; %bb.10:
	v_mov_b32_e32 v4, 0
	ds_read_b128 v[0:3], v4
	s_ashr_i32 s7, s6, 31
	s_lshl_b64 s[0:1], s[6:7], 2
	s_add_u32 s0, s8, s0
	s_addc_u32 s1, s9, s1
	s_waitcnt lgkmcnt(0)
	v_add_u32_e32 v0, v1, v0
	v_add_u32_e32 v0, v0, v2
	;; [unrolled: 1-line block ×3, first 2 shown]
	global_store_dword v4, v0, s[0:1]
.LBB72_11:
	s_endpgm
	.section	.rodata,"a",@progbits
	.p2align	6, 0x0
	.amdhsa_kernel _ZN5aiter22opus_moe_sorting_entryINS_29MoeSortingMultiPhaseKernel_P1INS_19MoeSortingProblemMpIifiLi1ELb0ELb1ELb1EEEEENS4_5KargsEEEvT0_
		.amdhsa_group_segment_fixed_size 16
		.amdhsa_private_segment_fixed_size 0
		.amdhsa_kernarg_size 40
		.amdhsa_user_sgpr_count 6
		.amdhsa_user_sgpr_private_segment_buffer 1
		.amdhsa_user_sgpr_dispatch_ptr 0
		.amdhsa_user_sgpr_queue_ptr 0
		.amdhsa_user_sgpr_kernarg_segment_ptr 1
		.amdhsa_user_sgpr_dispatch_id 0
		.amdhsa_user_sgpr_flat_scratch_init 0
		.amdhsa_user_sgpr_kernarg_preload_length 0
		.amdhsa_user_sgpr_kernarg_preload_offset 0
		.amdhsa_user_sgpr_private_segment_size 0
		.amdhsa_uses_dynamic_stack 0
		.amdhsa_system_sgpr_private_segment_wavefront_offset 0
		.amdhsa_system_sgpr_workgroup_id_x 1
		.amdhsa_system_sgpr_workgroup_id_y 0
		.amdhsa_system_sgpr_workgroup_id_z 0
		.amdhsa_system_sgpr_workgroup_info 0
		.amdhsa_system_vgpr_workitem_id 0
		.amdhsa_next_free_vgpr 12
		.amdhsa_next_free_sgpr 10
		.amdhsa_accum_offset 12
		.amdhsa_reserve_vcc 1
		.amdhsa_reserve_flat_scratch 0
		.amdhsa_float_round_mode_32 0
		.amdhsa_float_round_mode_16_64 0
		.amdhsa_float_denorm_mode_32 3
		.amdhsa_float_denorm_mode_16_64 3
		.amdhsa_dx10_clamp 1
		.amdhsa_ieee_mode 1
		.amdhsa_fp16_overflow 0
		.amdhsa_tg_split 0
		.amdhsa_exception_fp_ieee_invalid_op 0
		.amdhsa_exception_fp_denorm_src 0
		.amdhsa_exception_fp_ieee_div_zero 0
		.amdhsa_exception_fp_ieee_overflow 0
		.amdhsa_exception_fp_ieee_underflow 0
		.amdhsa_exception_fp_ieee_inexact 0
		.amdhsa_exception_int_div_zero 0
	.end_amdhsa_kernel
	.section	.text._ZN5aiter22opus_moe_sorting_entryINS_29MoeSortingMultiPhaseKernel_P1INS_19MoeSortingProblemMpIifiLi1ELb0ELb1ELb1EEEEENS4_5KargsEEEvT0_,"axG",@progbits,_ZN5aiter22opus_moe_sorting_entryINS_29MoeSortingMultiPhaseKernel_P1INS_19MoeSortingProblemMpIifiLi1ELb0ELb1ELb1EEEEENS4_5KargsEEEvT0_,comdat
.Lfunc_end72:
	.size	_ZN5aiter22opus_moe_sorting_entryINS_29MoeSortingMultiPhaseKernel_P1INS_19MoeSortingProblemMpIifiLi1ELb0ELb1ELb1EEEEENS4_5KargsEEEvT0_, .Lfunc_end72-_ZN5aiter22opus_moe_sorting_entryINS_29MoeSortingMultiPhaseKernel_P1INS_19MoeSortingProblemMpIifiLi1ELb0ELb1ELb1EEEEENS4_5KargsEEEvT0_
                                        ; -- End function
	.section	.AMDGPU.csdata,"",@progbits
; Kernel info:
; codeLenInByte = 480
; NumSgprs: 14
; NumVgprs: 12
; NumAgprs: 0
; TotalNumVgprs: 12
; ScratchSize: 0
; MemoryBound: 0
; FloatMode: 240
; IeeeMode: 1
; LDSByteSize: 16 bytes/workgroup (compile time only)
; SGPRBlocks: 1
; VGPRBlocks: 1
; NumSGPRsForWavesPerEU: 14
; NumVGPRsForWavesPerEU: 12
; AccumOffset: 12
; Occupancy: 8
; WaveLimiterHint : 1
; COMPUTE_PGM_RSRC2:SCRATCH_EN: 0
; COMPUTE_PGM_RSRC2:USER_SGPR: 6
; COMPUTE_PGM_RSRC2:TRAP_HANDLER: 0
; COMPUTE_PGM_RSRC2:TGID_X_EN: 1
; COMPUTE_PGM_RSRC2:TGID_Y_EN: 0
; COMPUTE_PGM_RSRC2:TGID_Z_EN: 0
; COMPUTE_PGM_RSRC2:TIDIG_COMP_CNT: 0
; COMPUTE_PGM_RSRC3_GFX90A:ACCUM_OFFSET: 2
; COMPUTE_PGM_RSRC3_GFX90A:TG_SPLIT: 0
	.section	.text._ZN5aiter22opus_moe_sorting_entryINS_32MoeSortingMultiPhaseKernel_P0_v1INS_19MoeSortingProblemMpIifiLi1ELb0ELb0ELb1EEEEENS4_5KargsEEEvT0_,"axG",@progbits,_ZN5aiter22opus_moe_sorting_entryINS_32MoeSortingMultiPhaseKernel_P0_v1INS_19MoeSortingProblemMpIifiLi1ELb0ELb0ELb1EEEEENS4_5KargsEEEvT0_,comdat
	.protected	_ZN5aiter22opus_moe_sorting_entryINS_32MoeSortingMultiPhaseKernel_P0_v1INS_19MoeSortingProblemMpIifiLi1ELb0ELb0ELb1EEEEENS4_5KargsEEEvT0_ ; -- Begin function _ZN5aiter22opus_moe_sorting_entryINS_32MoeSortingMultiPhaseKernel_P0_v1INS_19MoeSortingProblemMpIifiLi1ELb0ELb0ELb1EEEEENS4_5KargsEEEvT0_
	.globl	_ZN5aiter22opus_moe_sorting_entryINS_32MoeSortingMultiPhaseKernel_P0_v1INS_19MoeSortingProblemMpIifiLi1ELb0ELb0ELb1EEEEENS4_5KargsEEEvT0_
	.p2align	8
	.type	_ZN5aiter22opus_moe_sorting_entryINS_32MoeSortingMultiPhaseKernel_P0_v1INS_19MoeSortingProblemMpIifiLi1ELb0ELb0ELb1EEEEENS4_5KargsEEEvT0_,@function
_ZN5aiter22opus_moe_sorting_entryINS_32MoeSortingMultiPhaseKernel_P0_v1INS_19MoeSortingProblemMpIifiLi1ELb0ELb0ELb1EEEEENS4_5KargsEEEvT0_: ; @_ZN5aiter22opus_moe_sorting_entryINS_32MoeSortingMultiPhaseKernel_P0_v1INS_19MoeSortingProblemMpIifiLi1ELb0ELb0ELb1EEEEENS4_5KargsEEEvT0_
; %bb.0:
	s_load_dwordx4 s[0:3], s[4:5], 0x18
	v_lshl_add_u32 v0, s6, 8, v0
	s_waitcnt lgkmcnt(0)
	s_mul_i32 s0, s3, s0
	v_cmp_gt_i32_e32 vcc, s0, v0
	s_and_saveexec_b64 s[6:7], vcc
	s_cbranch_execz .LBB73_5
; %bb.1:
	s_load_dword s12, s[4:5], 0x30
	s_load_dwordx2 s[6:7], s[4:5], 0x0
	s_load_dwordx2 s[8:9], s[4:5], 0x10
	s_load_dwordx2 s[10:11], s[4:5], 0x28
	s_sub_i32 s3, 0, s3
	s_waitcnt lgkmcnt(0)
	s_lshl_b32 s14, s12, 8
	s_mov_b64 s[4:5], 0
	v_mov_b32_e32 v2, s7
	v_mov_b32_e32 v3, 0
	s_branch .LBB73_3
.LBB73_2:                               ;   in Loop: Header=BB73_3 Depth=1
	s_or_b64 exec, exec, s[12:13]
	v_add_u32_e32 v0, s14, v0
	v_cmp_le_i32_e32 vcc, s0, v0
	s_or_b64 s[4:5], vcc, s[4:5]
	s_andn2_b64 exec, exec, s[4:5]
	s_cbranch_execz .LBB73_5
.LBB73_3:                               ; =>This Inner Loop Header: Depth=1
	v_ashrrev_i32_e32 v1, 31, v0
	v_lshlrev_b64 v[4:5], 2, v[0:1]
	v_add_co_u32_e32 v4, vcc, s6, v4
	v_addc_co_u32_e32 v5, vcc, v2, v5, vcc
	global_load_dword v1, v[4:5], off
	s_waitcnt vmcnt(0)
	v_cmp_gt_i32_e32 vcc, s1, v1
	s_and_saveexec_b64 s[12:13], vcc
	s_cbranch_execz .LBB73_2
; %bb.4:                                ;   in Loop: Header=BB73_3 Depth=1
	v_mul_hi_u32 v4, s10, v0
	v_add_u32_e32 v4, v0, v4
	v_lshrrev_b32_e32 v4, s11, v4
	v_mul_lo_u32 v5, s3, v4
	v_add3_u32 v5, v0, v5, 1
	v_and_b32_e32 v6, 0xffff, v5
	v_mad_u64_u32 v[4:5], s[16:17], v1, s2, v[4:5]
	v_mov_b32_e32 v5, v3
	v_lshlrev_b64 v[4:5], 2, v[4:5]
	v_mov_b32_e32 v1, s9
	v_add_co_u32_e32 v4, vcc, s8, v4
	v_addc_co_u32_e32 v5, vcc, v1, v5, vcc
	global_store_dword v[4:5], v6, off
	s_branch .LBB73_2
.LBB73_5:
	s_endpgm
	.section	.rodata,"a",@progbits
	.p2align	6, 0x0
	.amdhsa_kernel _ZN5aiter22opus_moe_sorting_entryINS_32MoeSortingMultiPhaseKernel_P0_v1INS_19MoeSortingProblemMpIifiLi1ELb0ELb0ELb1EEEEENS4_5KargsEEEvT0_
		.amdhsa_group_segment_fixed_size 0
		.amdhsa_private_segment_fixed_size 0
		.amdhsa_kernarg_size 304
		.amdhsa_user_sgpr_count 6
		.amdhsa_user_sgpr_private_segment_buffer 1
		.amdhsa_user_sgpr_dispatch_ptr 0
		.amdhsa_user_sgpr_queue_ptr 0
		.amdhsa_user_sgpr_kernarg_segment_ptr 1
		.amdhsa_user_sgpr_dispatch_id 0
		.amdhsa_user_sgpr_flat_scratch_init 0
		.amdhsa_user_sgpr_kernarg_preload_length 0
		.amdhsa_user_sgpr_kernarg_preload_offset 0
		.amdhsa_user_sgpr_private_segment_size 0
		.amdhsa_uses_dynamic_stack 0
		.amdhsa_system_sgpr_private_segment_wavefront_offset 0
		.amdhsa_system_sgpr_workgroup_id_x 1
		.amdhsa_system_sgpr_workgroup_id_y 0
		.amdhsa_system_sgpr_workgroup_id_z 0
		.amdhsa_system_sgpr_workgroup_info 0
		.amdhsa_system_vgpr_workitem_id 0
		.amdhsa_next_free_vgpr 7
		.amdhsa_next_free_sgpr 18
		.amdhsa_accum_offset 8
		.amdhsa_reserve_vcc 1
		.amdhsa_reserve_flat_scratch 0
		.amdhsa_float_round_mode_32 0
		.amdhsa_float_round_mode_16_64 0
		.amdhsa_float_denorm_mode_32 3
		.amdhsa_float_denorm_mode_16_64 3
		.amdhsa_dx10_clamp 1
		.amdhsa_ieee_mode 1
		.amdhsa_fp16_overflow 0
		.amdhsa_tg_split 0
		.amdhsa_exception_fp_ieee_invalid_op 0
		.amdhsa_exception_fp_denorm_src 0
		.amdhsa_exception_fp_ieee_div_zero 0
		.amdhsa_exception_fp_ieee_overflow 0
		.amdhsa_exception_fp_ieee_underflow 0
		.amdhsa_exception_fp_ieee_inexact 0
		.amdhsa_exception_int_div_zero 0
	.end_amdhsa_kernel
	.section	.text._ZN5aiter22opus_moe_sorting_entryINS_32MoeSortingMultiPhaseKernel_P0_v1INS_19MoeSortingProblemMpIifiLi1ELb0ELb0ELb1EEEEENS4_5KargsEEEvT0_,"axG",@progbits,_ZN5aiter22opus_moe_sorting_entryINS_32MoeSortingMultiPhaseKernel_P0_v1INS_19MoeSortingProblemMpIifiLi1ELb0ELb0ELb1EEEEENS4_5KargsEEEvT0_,comdat
.Lfunc_end73:
	.size	_ZN5aiter22opus_moe_sorting_entryINS_32MoeSortingMultiPhaseKernel_P0_v1INS_19MoeSortingProblemMpIifiLi1ELb0ELb0ELb1EEEEENS4_5KargsEEEvT0_, .Lfunc_end73-_ZN5aiter22opus_moe_sorting_entryINS_32MoeSortingMultiPhaseKernel_P0_v1INS_19MoeSortingProblemMpIifiLi1ELb0ELb0ELb1EEEEENS4_5KargsEEEvT0_
                                        ; -- End function
	.section	.AMDGPU.csdata,"",@progbits
; Kernel info:
; codeLenInByte = 252
; NumSgprs: 22
; NumVgprs: 7
; NumAgprs: 0
; TotalNumVgprs: 7
; ScratchSize: 0
; MemoryBound: 0
; FloatMode: 240
; IeeeMode: 1
; LDSByteSize: 0 bytes/workgroup (compile time only)
; SGPRBlocks: 2
; VGPRBlocks: 0
; NumSGPRsForWavesPerEU: 22
; NumVGPRsForWavesPerEU: 7
; AccumOffset: 8
; Occupancy: 8
; WaveLimiterHint : 1
; COMPUTE_PGM_RSRC2:SCRATCH_EN: 0
; COMPUTE_PGM_RSRC2:USER_SGPR: 6
; COMPUTE_PGM_RSRC2:TRAP_HANDLER: 0
; COMPUTE_PGM_RSRC2:TGID_X_EN: 1
; COMPUTE_PGM_RSRC2:TGID_Y_EN: 0
; COMPUTE_PGM_RSRC2:TGID_Z_EN: 0
; COMPUTE_PGM_RSRC2:TIDIG_COMP_CNT: 0
; COMPUTE_PGM_RSRC3_GFX90A:ACCUM_OFFSET: 1
; COMPUTE_PGM_RSRC3_GFX90A:TG_SPLIT: 0
	.section	.text._ZN5aiter22opus_moe_sorting_entryINS_29MoeSortingMultiPhaseKernel_P1INS_19MoeSortingProblemMpIifiLi1ELb0ELb0ELb1EEEEENS4_5KargsEEEvT0_,"axG",@progbits,_ZN5aiter22opus_moe_sorting_entryINS_29MoeSortingMultiPhaseKernel_P1INS_19MoeSortingProblemMpIifiLi1ELb0ELb0ELb1EEEEENS4_5KargsEEEvT0_,comdat
	.protected	_ZN5aiter22opus_moe_sorting_entryINS_29MoeSortingMultiPhaseKernel_P1INS_19MoeSortingProblemMpIifiLi1ELb0ELb0ELb1EEEEENS4_5KargsEEEvT0_ ; -- Begin function _ZN5aiter22opus_moe_sorting_entryINS_29MoeSortingMultiPhaseKernel_P1INS_19MoeSortingProblemMpIifiLi1ELb0ELb0ELb1EEEEENS4_5KargsEEEvT0_
	.globl	_ZN5aiter22opus_moe_sorting_entryINS_29MoeSortingMultiPhaseKernel_P1INS_19MoeSortingProblemMpIifiLi1ELb0ELb0ELb1EEEEENS4_5KargsEEEvT0_
	.p2align	8
	.type	_ZN5aiter22opus_moe_sorting_entryINS_29MoeSortingMultiPhaseKernel_P1INS_19MoeSortingProblemMpIifiLi1ELb0ELb0ELb1EEEEENS4_5KargsEEEvT0_,@function
_ZN5aiter22opus_moe_sorting_entryINS_29MoeSortingMultiPhaseKernel_P1INS_19MoeSortingProblemMpIifiLi1ELb0ELb0ELb1EEEEENS4_5KargsEEEvT0_: ; @_ZN5aiter22opus_moe_sorting_entryINS_29MoeSortingMultiPhaseKernel_P1INS_19MoeSortingProblemMpIifiLi1ELb0ELb0ELb1EEEEENS4_5KargsEEEvT0_
; %bb.0:
	s_load_dword s7, s[4:5], 0x20
	s_mov_b32 s10, 0
	s_waitcnt lgkmcnt(0)
	s_cmp_gt_i32 s7, 0
	s_cbranch_scc1 .LBB74_2
; %bb.1:
	s_load_dwordx4 s[0:3], s[4:5], 0x10
	v_mov_b32_e32 v1, s10
	s_cbranch_execz .LBB74_3
	s_branch .LBB74_7
.LBB74_2:
                                        ; implicit-def: $sgpr10
	s_load_dwordx4 s[0:3], s[4:5], 0x10
	v_mov_b32_e32 v1, s10
.LBB74_3:
	s_mul_i32 s4, s7, s6
	s_ashr_i32 s5, s4, 31
	s_lshl_b64 s[4:5], s[4:5], 2
	v_mbcnt_lo_u32_b32 v2, -1, 0
	s_waitcnt lgkmcnt(0)
	s_add_u32 s4, s0, s4
	v_mbcnt_hi_u32_b32 v2, -1, v2
	s_addc_u32 s5, s1, s5
	s_add_i32 s0, s7, 0xff
	v_lshlrev_b32_e32 v2, 2, v2
	s_lshr_b32 s8, s0, 8
	v_mov_b32_e32 v1, 0
	v_xor_b32_e32 v4, 4, v2
	v_xor_b32_e32 v5, 8, v2
	;; [unrolled: 1-line block ×6, first 2 shown]
	v_mov_b32_e32 v2, v0
	s_branch .LBB74_5
.LBB74_4:                               ;   in Loop: Header=BB74_5 Depth=1
	s_or_b64 exec, exec, s[0:1]
	s_waitcnt vmcnt(0)
	v_cmp_ne_u32_e32 vcc, 0, v3
	v_cndmask_b32_e64 v3, 0, 1, vcc
	ds_bpermute_b32 v3, v4, v3
	s_add_i32 s8, s8, -1
	s_cmp_eq_u32 s8, 0
	v_add_u32_e32 v2, 0x100, v2
	s_waitcnt lgkmcnt(0)
	v_addc_co_u32_e64 v10, s[0:1], 0, v3, vcc
	ds_bpermute_b32 v10, v5, v10
	s_waitcnt lgkmcnt(0)
	v_addc_co_u32_e32 v3, vcc, v10, v3, vcc
	ds_bpermute_b32 v10, v6, v3
	s_waitcnt lgkmcnt(0)
	v_add_u32_e32 v3, v3, v10
	ds_bpermute_b32 v10, v7, v3
	s_waitcnt lgkmcnt(0)
	v_add_u32_e32 v3, v3, v10
	;; [unrolled: 3-line block ×3, first 2 shown]
	ds_bpermute_b32 v10, v9, v3
	s_waitcnt lgkmcnt(0)
	v_add3_u32 v1, v10, v1, v3
	s_cbranch_scc1 .LBB74_7
.LBB74_5:                               ; =>This Inner Loop Header: Depth=1
	v_cmp_gt_i32_e32 vcc, s7, v2
	v_mov_b32_e32 v3, 0
	s_and_saveexec_b64 s[0:1], vcc
	s_cbranch_execz .LBB74_4
; %bb.6:                                ;   in Loop: Header=BB74_5 Depth=1
	v_ashrrev_i32_e32 v3, 31, v2
	v_lshlrev_b64 v[10:11], 2, v[2:3]
	v_mov_b32_e32 v3, s5
	v_add_co_u32_e32 v10, vcc, s4, v10
	v_addc_co_u32_e32 v11, vcc, v3, v11, vcc
	global_load_dword v3, v[10:11], off
	s_branch .LBB74_4
.LBB74_7:
	v_and_b32_e32 v2, 63, v0
	v_cmp_eq_u32_e32 vcc, 0, v2
	s_waitcnt lgkmcnt(0)
	s_and_saveexec_b64 s[0:1], vcc
	s_cbranch_execz .LBB74_9
; %bb.8:
	v_lshrrev_b32_e32 v2, 4, v0
	ds_write_b32 v2, v1
.LBB74_9:
	s_or_b64 exec, exec, s[0:1]
	v_cmp_eq_u32_e32 vcc, 0, v0
	s_waitcnt lgkmcnt(0)
	s_barrier
	s_and_saveexec_b64 s[0:1], vcc
	s_cbranch_execz .LBB74_11
; %bb.10:
	v_mov_b32_e32 v4, 0
	ds_read_b128 v[0:3], v4
	s_ashr_i32 s7, s6, 31
	s_lshl_b64 s[0:1], s[6:7], 2
	s_add_u32 s0, s2, s0
	s_addc_u32 s1, s3, s1
	s_waitcnt lgkmcnt(0)
	v_add_u32_e32 v0, v1, v0
	v_add_u32_e32 v0, v0, v2
	;; [unrolled: 1-line block ×3, first 2 shown]
	global_store_dword v4, v0, s[0:1]
.LBB74_11:
	s_endpgm
	.section	.rodata,"a",@progbits
	.p2align	6, 0x0
	.amdhsa_kernel _ZN5aiter22opus_moe_sorting_entryINS_29MoeSortingMultiPhaseKernel_P1INS_19MoeSortingProblemMpIifiLi1ELb0ELb0ELb1EEEEENS4_5KargsEEEvT0_
		.amdhsa_group_segment_fixed_size 16
		.amdhsa_private_segment_fixed_size 0
		.amdhsa_kernarg_size 40
		.amdhsa_user_sgpr_count 6
		.amdhsa_user_sgpr_private_segment_buffer 1
		.amdhsa_user_sgpr_dispatch_ptr 0
		.amdhsa_user_sgpr_queue_ptr 0
		.amdhsa_user_sgpr_kernarg_segment_ptr 1
		.amdhsa_user_sgpr_dispatch_id 0
		.amdhsa_user_sgpr_flat_scratch_init 0
		.amdhsa_user_sgpr_kernarg_preload_length 0
		.amdhsa_user_sgpr_kernarg_preload_offset 0
		.amdhsa_user_sgpr_private_segment_size 0
		.amdhsa_uses_dynamic_stack 0
		.amdhsa_system_sgpr_private_segment_wavefront_offset 0
		.amdhsa_system_sgpr_workgroup_id_x 1
		.amdhsa_system_sgpr_workgroup_id_y 0
		.amdhsa_system_sgpr_workgroup_id_z 0
		.amdhsa_system_sgpr_workgroup_info 0
		.amdhsa_system_vgpr_workitem_id 0
		.amdhsa_next_free_vgpr 12
		.amdhsa_next_free_sgpr 11
		.amdhsa_accum_offset 12
		.amdhsa_reserve_vcc 1
		.amdhsa_reserve_flat_scratch 0
		.amdhsa_float_round_mode_32 0
		.amdhsa_float_round_mode_16_64 0
		.amdhsa_float_denorm_mode_32 3
		.amdhsa_float_denorm_mode_16_64 3
		.amdhsa_dx10_clamp 1
		.amdhsa_ieee_mode 1
		.amdhsa_fp16_overflow 0
		.amdhsa_tg_split 0
		.amdhsa_exception_fp_ieee_invalid_op 0
		.amdhsa_exception_fp_denorm_src 0
		.amdhsa_exception_fp_ieee_div_zero 0
		.amdhsa_exception_fp_ieee_overflow 0
		.amdhsa_exception_fp_ieee_underflow 0
		.amdhsa_exception_fp_ieee_inexact 0
		.amdhsa_exception_int_div_zero 0
	.end_amdhsa_kernel
	.section	.text._ZN5aiter22opus_moe_sorting_entryINS_29MoeSortingMultiPhaseKernel_P1INS_19MoeSortingProblemMpIifiLi1ELb0ELb0ELb1EEEEENS4_5KargsEEEvT0_,"axG",@progbits,_ZN5aiter22opus_moe_sorting_entryINS_29MoeSortingMultiPhaseKernel_P1INS_19MoeSortingProblemMpIifiLi1ELb0ELb0ELb1EEEEENS4_5KargsEEEvT0_,comdat
.Lfunc_end74:
	.size	_ZN5aiter22opus_moe_sorting_entryINS_29MoeSortingMultiPhaseKernel_P1INS_19MoeSortingProblemMpIifiLi1ELb0ELb0ELb1EEEEENS4_5KargsEEEvT0_, .Lfunc_end74-_ZN5aiter22opus_moe_sorting_entryINS_29MoeSortingMultiPhaseKernel_P1INS_19MoeSortingProblemMpIifiLi1ELb0ELb0ELb1EEEEENS4_5KargsEEEvT0_
                                        ; -- End function
	.section	.AMDGPU.csdata,"",@progbits
; Kernel info:
; codeLenInByte = 460
; NumSgprs: 15
; NumVgprs: 12
; NumAgprs: 0
; TotalNumVgprs: 12
; ScratchSize: 0
; MemoryBound: 0
; FloatMode: 240
; IeeeMode: 1
; LDSByteSize: 16 bytes/workgroup (compile time only)
; SGPRBlocks: 1
; VGPRBlocks: 1
; NumSGPRsForWavesPerEU: 15
; NumVGPRsForWavesPerEU: 12
; AccumOffset: 12
; Occupancy: 8
; WaveLimiterHint : 0
; COMPUTE_PGM_RSRC2:SCRATCH_EN: 0
; COMPUTE_PGM_RSRC2:USER_SGPR: 6
; COMPUTE_PGM_RSRC2:TRAP_HANDLER: 0
; COMPUTE_PGM_RSRC2:TGID_X_EN: 1
; COMPUTE_PGM_RSRC2:TGID_Y_EN: 0
; COMPUTE_PGM_RSRC2:TGID_Z_EN: 0
; COMPUTE_PGM_RSRC2:TIDIG_COMP_CNT: 0
; COMPUTE_PGM_RSRC3_GFX90A:ACCUM_OFFSET: 2
; COMPUTE_PGM_RSRC3_GFX90A:TG_SPLIT: 0
	.text
	.p2alignl 6, 3212836864
	.fill 256, 4, 3212836864
	.type	__hip_cuid_3678deacccdbd292,@object ; @__hip_cuid_3678deacccdbd292
	.section	.bss,"aw",@nobits
	.globl	__hip_cuid_3678deacccdbd292
__hip_cuid_3678deacccdbd292:
	.byte	0                               ; 0x0
	.size	__hip_cuid_3678deacccdbd292, 1

	.ident	"AMD clang version 19.0.0git (https://github.com/RadeonOpenCompute/llvm-project roc-6.4.0 25133 c7fe45cf4b819c5991fe208aaa96edf142730f1d)"
	.section	".note.GNU-stack","",@progbits
	.addrsig
	.addrsig_sym __hip_cuid_3678deacccdbd292
	.amdgpu_metadata
---
amdhsa.kernels:
  - .agpr_count:     0
    .args:           []
    .group_segment_fixed_size: 0
    .kernarg_segment_align: 4
    .kernarg_segment_size: 0
    .language:       OpenCL C
    .language_version:
      - 2
      - 0
    .max_flat_workgroup_size: 1024
    .name:           _ZN7ck_tileL11flush_cacheEv
    .private_segment_fixed_size: 0
    .sgpr_count:     4
    .sgpr_spill_count: 0
    .symbol:         _ZN7ck_tileL11flush_cacheEv.kd
    .uniform_work_group_size: 1
    .uses_dynamic_stack: false
    .vgpr_count:     0
    .vgpr_spill_count: 0
    .wavefront_size: 64
  - .agpr_count:     0
    .args:
      - .offset:         0
        .size:           144
        .value_kind:     by_value
      - .offset:         144
        .size:           4
        .value_kind:     hidden_block_count_x
      - .offset:         148
        .size:           4
        .value_kind:     hidden_block_count_y
      - .offset:         152
        .size:           4
        .value_kind:     hidden_block_count_z
      - .offset:         156
        .size:           2
        .value_kind:     hidden_group_size_x
      - .offset:         158
        .size:           2
        .value_kind:     hidden_group_size_y
      - .offset:         160
        .size:           2
        .value_kind:     hidden_group_size_z
      - .offset:         162
        .size:           2
        .value_kind:     hidden_remainder_x
      - .offset:         164
        .size:           2
        .value_kind:     hidden_remainder_y
      - .offset:         166
        .size:           2
        .value_kind:     hidden_remainder_z
      - .offset:         184
        .size:           8
        .value_kind:     hidden_global_offset_x
      - .offset:         192
        .size:           8
        .value_kind:     hidden_global_offset_y
      - .offset:         200
        .size:           8
        .value_kind:     hidden_global_offset_z
      - .offset:         208
        .size:           2
        .value_kind:     hidden_grid_dims
      - .offset:         264
        .size:           4
        .value_kind:     hidden_dynamic_lds_size
    .group_segment_fixed_size: 0
    .kernarg_segment_align: 8
    .kernarg_segment_size: 400
    .language:       OpenCL C
    .language_version:
      - 2
      - 0
    .max_flat_workgroup_size: 1024
    .name:           _ZN5aiter22opus_moe_sorting_entryINS_16MoeSortingKernelINS_19MoeSortingProblemExIifLi8ELb1ELb1ELb1ELb1ELi0EEEEENS4_5KargsEEEvT0_
    .private_segment_fixed_size: 0
    .sgpr_count:     62
    .sgpr_spill_count: 0
    .symbol:         _ZN5aiter22opus_moe_sorting_entryINS_16MoeSortingKernelINS_19MoeSortingProblemExIifLi8ELb1ELb1ELb1ELb1ELi0EEEEENS4_5KargsEEEvT0_.kd
    .uniform_work_group_size: 1
    .uses_dynamic_stack: false
    .vgpr_count:     29
    .vgpr_spill_count: 0
    .wavefront_size: 64
  - .agpr_count:     0
    .args:
      - .offset:         0
        .size:           144
        .value_kind:     by_value
      - .offset:         144
        .size:           4
        .value_kind:     hidden_block_count_x
      - .offset:         148
        .size:           4
        .value_kind:     hidden_block_count_y
      - .offset:         152
        .size:           4
        .value_kind:     hidden_block_count_z
      - .offset:         156
        .size:           2
        .value_kind:     hidden_group_size_x
      - .offset:         158
        .size:           2
        .value_kind:     hidden_group_size_y
      - .offset:         160
        .size:           2
        .value_kind:     hidden_group_size_z
      - .offset:         162
        .size:           2
        .value_kind:     hidden_remainder_x
      - .offset:         164
        .size:           2
        .value_kind:     hidden_remainder_y
      - .offset:         166
        .size:           2
        .value_kind:     hidden_remainder_z
      - .offset:         184
        .size:           8
        .value_kind:     hidden_global_offset_x
      - .offset:         192
        .size:           8
        .value_kind:     hidden_global_offset_y
      - .offset:         200
        .size:           8
        .value_kind:     hidden_global_offset_z
      - .offset:         208
        .size:           2
        .value_kind:     hidden_grid_dims
      - .offset:         264
        .size:           4
        .value_kind:     hidden_dynamic_lds_size
    .group_segment_fixed_size: 0
    .kernarg_segment_align: 8
    .kernarg_segment_size: 400
    .language:       OpenCL C
    .language_version:
      - 2
      - 0
    .max_flat_workgroup_size: 1024
    .name:           _ZN5aiter22opus_moe_sorting_entryINS_16MoeSortingKernelINS_19MoeSortingProblemExIifLi4ELb1ELb1ELb1ELb1ELi0EEEEENS4_5KargsEEEvT0_
    .private_segment_fixed_size: 0
    .sgpr_count:     52
    .sgpr_spill_count: 0
    .symbol:         _ZN5aiter22opus_moe_sorting_entryINS_16MoeSortingKernelINS_19MoeSortingProblemExIifLi4ELb1ELb1ELb1ELb1ELi0EEEEENS4_5KargsEEEvT0_.kd
    .uniform_work_group_size: 1
    .uses_dynamic_stack: false
    .vgpr_count:     27
    .vgpr_spill_count: 0
    .wavefront_size: 64
  - .agpr_count:     0
    .args:
      - .offset:         0
        .size:           144
        .value_kind:     by_value
      - .offset:         144
        .size:           4
        .value_kind:     hidden_block_count_x
      - .offset:         148
        .size:           4
        .value_kind:     hidden_block_count_y
      - .offset:         152
        .size:           4
        .value_kind:     hidden_block_count_z
      - .offset:         156
        .size:           2
        .value_kind:     hidden_group_size_x
      - .offset:         158
        .size:           2
        .value_kind:     hidden_group_size_y
      - .offset:         160
        .size:           2
        .value_kind:     hidden_group_size_z
      - .offset:         162
        .size:           2
        .value_kind:     hidden_remainder_x
      - .offset:         164
        .size:           2
        .value_kind:     hidden_remainder_y
      - .offset:         166
        .size:           2
        .value_kind:     hidden_remainder_z
      - .offset:         184
        .size:           8
        .value_kind:     hidden_global_offset_x
      - .offset:         192
        .size:           8
        .value_kind:     hidden_global_offset_y
      - .offset:         200
        .size:           8
        .value_kind:     hidden_global_offset_z
      - .offset:         208
        .size:           2
        .value_kind:     hidden_grid_dims
      - .offset:         264
        .size:           4
        .value_kind:     hidden_dynamic_lds_size
    .group_segment_fixed_size: 0
    .kernarg_segment_align: 8
    .kernarg_segment_size: 400
    .language:       OpenCL C
    .language_version:
      - 2
      - 0
    .max_flat_workgroup_size: 1024
    .name:           _ZN5aiter22opus_moe_sorting_entryINS_16MoeSortingKernelINS_19MoeSortingProblemExIifLi2ELb1ELb1ELb1ELb1ELi0EEEEENS4_5KargsEEEvT0_
    .private_segment_fixed_size: 0
    .sgpr_count:     50
    .sgpr_spill_count: 0
    .symbol:         _ZN5aiter22opus_moe_sorting_entryINS_16MoeSortingKernelINS_19MoeSortingProblemExIifLi2ELb1ELb1ELb1ELb1ELi0EEEEENS4_5KargsEEEvT0_.kd
    .uniform_work_group_size: 1
    .uses_dynamic_stack: false
    .vgpr_count:     21
    .vgpr_spill_count: 0
    .wavefront_size: 64
  - .agpr_count:     0
    .args:
      - .offset:         0
        .size:           144
        .value_kind:     by_value
      - .offset:         144
        .size:           4
        .value_kind:     hidden_block_count_x
      - .offset:         148
        .size:           4
        .value_kind:     hidden_block_count_y
      - .offset:         152
        .size:           4
        .value_kind:     hidden_block_count_z
      - .offset:         156
        .size:           2
        .value_kind:     hidden_group_size_x
      - .offset:         158
        .size:           2
        .value_kind:     hidden_group_size_y
      - .offset:         160
        .size:           2
        .value_kind:     hidden_group_size_z
      - .offset:         162
        .size:           2
        .value_kind:     hidden_remainder_x
      - .offset:         164
        .size:           2
        .value_kind:     hidden_remainder_y
      - .offset:         166
        .size:           2
        .value_kind:     hidden_remainder_z
      - .offset:         184
        .size:           8
        .value_kind:     hidden_global_offset_x
      - .offset:         192
        .size:           8
        .value_kind:     hidden_global_offset_y
      - .offset:         200
        .size:           8
        .value_kind:     hidden_global_offset_z
      - .offset:         208
        .size:           2
        .value_kind:     hidden_grid_dims
      - .offset:         264
        .size:           4
        .value_kind:     hidden_dynamic_lds_size
    .group_segment_fixed_size: 0
    .kernarg_segment_align: 8
    .kernarg_segment_size: 400
    .language:       OpenCL C
    .language_version:
      - 2
      - 0
    .max_flat_workgroup_size: 1024
    .name:           _ZN5aiter22opus_moe_sorting_entryINS_16MoeSortingKernelINS_19MoeSortingProblemExIifLi1ELb1ELb1ELb1ELb1ELi0EEEEENS4_5KargsEEEvT0_
    .private_segment_fixed_size: 0
    .sgpr_count:     50
    .sgpr_spill_count: 0
    .symbol:         _ZN5aiter22opus_moe_sorting_entryINS_16MoeSortingKernelINS_19MoeSortingProblemExIifLi1ELb1ELb1ELb1ELb1ELi0EEEEENS4_5KargsEEEvT0_.kd
    .uniform_work_group_size: 1
    .uses_dynamic_stack: false
    .vgpr_count:     21
    .vgpr_spill_count: 0
    .wavefront_size: 64
  - .agpr_count:     0
    .args:
      - .offset:         0
        .size:           144
        .value_kind:     by_value
      - .offset:         144
        .size:           4
        .value_kind:     hidden_block_count_x
      - .offset:         148
        .size:           4
        .value_kind:     hidden_block_count_y
      - .offset:         152
        .size:           4
        .value_kind:     hidden_block_count_z
      - .offset:         156
        .size:           2
        .value_kind:     hidden_group_size_x
      - .offset:         158
        .size:           2
        .value_kind:     hidden_group_size_y
      - .offset:         160
        .size:           2
        .value_kind:     hidden_group_size_z
      - .offset:         162
        .size:           2
        .value_kind:     hidden_remainder_x
      - .offset:         164
        .size:           2
        .value_kind:     hidden_remainder_y
      - .offset:         166
        .size:           2
        .value_kind:     hidden_remainder_z
      - .offset:         184
        .size:           8
        .value_kind:     hidden_global_offset_x
      - .offset:         192
        .size:           8
        .value_kind:     hidden_global_offset_y
      - .offset:         200
        .size:           8
        .value_kind:     hidden_global_offset_z
      - .offset:         208
        .size:           2
        .value_kind:     hidden_grid_dims
      - .offset:         264
        .size:           4
        .value_kind:     hidden_dynamic_lds_size
    .group_segment_fixed_size: 0
    .kernarg_segment_align: 8
    .kernarg_segment_size: 400
    .language:       OpenCL C
    .language_version:
      - 2
      - 0
    .max_flat_workgroup_size: 1024
    .name:           _ZN5aiter22opus_moe_sorting_entryINS_16MoeSortingKernelINS_19MoeSortingProblemExIifLi8ELb1ELb1ELb0ELb1ELi0EEEEENS4_5KargsEEEvT0_
    .private_segment_fixed_size: 0
    .sgpr_count:     62
    .sgpr_spill_count: 0
    .symbol:         _ZN5aiter22opus_moe_sorting_entryINS_16MoeSortingKernelINS_19MoeSortingProblemExIifLi8ELb1ELb1ELb0ELb1ELi0EEEEENS4_5KargsEEEvT0_.kd
    .uniform_work_group_size: 1
    .uses_dynamic_stack: false
    .vgpr_count:     29
    .vgpr_spill_count: 0
    .wavefront_size: 64
  - .agpr_count:     0
    .args:
      - .offset:         0
        .size:           144
        .value_kind:     by_value
      - .offset:         144
        .size:           4
        .value_kind:     hidden_block_count_x
      - .offset:         148
        .size:           4
        .value_kind:     hidden_block_count_y
      - .offset:         152
        .size:           4
        .value_kind:     hidden_block_count_z
      - .offset:         156
        .size:           2
        .value_kind:     hidden_group_size_x
      - .offset:         158
        .size:           2
        .value_kind:     hidden_group_size_y
      - .offset:         160
        .size:           2
        .value_kind:     hidden_group_size_z
      - .offset:         162
        .size:           2
        .value_kind:     hidden_remainder_x
      - .offset:         164
        .size:           2
        .value_kind:     hidden_remainder_y
      - .offset:         166
        .size:           2
        .value_kind:     hidden_remainder_z
      - .offset:         184
        .size:           8
        .value_kind:     hidden_global_offset_x
      - .offset:         192
        .size:           8
        .value_kind:     hidden_global_offset_y
      - .offset:         200
        .size:           8
        .value_kind:     hidden_global_offset_z
      - .offset:         208
        .size:           2
        .value_kind:     hidden_grid_dims
      - .offset:         264
        .size:           4
        .value_kind:     hidden_dynamic_lds_size
    .group_segment_fixed_size: 0
    .kernarg_segment_align: 8
    .kernarg_segment_size: 400
    .language:       OpenCL C
    .language_version:
      - 2
      - 0
    .max_flat_workgroup_size: 1024
    .name:           _ZN5aiter22opus_moe_sorting_entryINS_16MoeSortingKernelINS_19MoeSortingProblemExIifLi4ELb1ELb1ELb0ELb1ELi0EEEEENS4_5KargsEEEvT0_
    .private_segment_fixed_size: 0
    .sgpr_count:     53
    .sgpr_spill_count: 0
    .symbol:         _ZN5aiter22opus_moe_sorting_entryINS_16MoeSortingKernelINS_19MoeSortingProblemExIifLi4ELb1ELb1ELb0ELb1ELi0EEEEENS4_5KargsEEEvT0_.kd
    .uniform_work_group_size: 1
    .uses_dynamic_stack: false
    .vgpr_count:     27
    .vgpr_spill_count: 0
    .wavefront_size: 64
  - .agpr_count:     0
    .args:
      - .offset:         0
        .size:           144
        .value_kind:     by_value
      - .offset:         144
        .size:           4
        .value_kind:     hidden_block_count_x
      - .offset:         148
        .size:           4
        .value_kind:     hidden_block_count_y
      - .offset:         152
        .size:           4
        .value_kind:     hidden_block_count_z
      - .offset:         156
        .size:           2
        .value_kind:     hidden_group_size_x
      - .offset:         158
        .size:           2
        .value_kind:     hidden_group_size_y
      - .offset:         160
        .size:           2
        .value_kind:     hidden_group_size_z
      - .offset:         162
        .size:           2
        .value_kind:     hidden_remainder_x
      - .offset:         164
        .size:           2
        .value_kind:     hidden_remainder_y
      - .offset:         166
        .size:           2
        .value_kind:     hidden_remainder_z
      - .offset:         184
        .size:           8
        .value_kind:     hidden_global_offset_x
      - .offset:         192
        .size:           8
        .value_kind:     hidden_global_offset_y
      - .offset:         200
        .size:           8
        .value_kind:     hidden_global_offset_z
      - .offset:         208
        .size:           2
        .value_kind:     hidden_grid_dims
      - .offset:         264
        .size:           4
        .value_kind:     hidden_dynamic_lds_size
    .group_segment_fixed_size: 0
    .kernarg_segment_align: 8
    .kernarg_segment_size: 400
    .language:       OpenCL C
    .language_version:
      - 2
      - 0
    .max_flat_workgroup_size: 1024
    .name:           _ZN5aiter22opus_moe_sorting_entryINS_16MoeSortingKernelINS_19MoeSortingProblemExIifLi2ELb1ELb1ELb0ELb1ELi0EEEEENS4_5KargsEEEvT0_
    .private_segment_fixed_size: 0
    .sgpr_count:     50
    .sgpr_spill_count: 0
    .symbol:         _ZN5aiter22opus_moe_sorting_entryINS_16MoeSortingKernelINS_19MoeSortingProblemExIifLi2ELb1ELb1ELb0ELb1ELi0EEEEENS4_5KargsEEEvT0_.kd
    .uniform_work_group_size: 1
    .uses_dynamic_stack: false
    .vgpr_count:     21
    .vgpr_spill_count: 0
    .wavefront_size: 64
  - .agpr_count:     0
    .args:
      - .offset:         0
        .size:           144
        .value_kind:     by_value
      - .offset:         144
        .size:           4
        .value_kind:     hidden_block_count_x
      - .offset:         148
        .size:           4
        .value_kind:     hidden_block_count_y
      - .offset:         152
        .size:           4
        .value_kind:     hidden_block_count_z
      - .offset:         156
        .size:           2
        .value_kind:     hidden_group_size_x
      - .offset:         158
        .size:           2
        .value_kind:     hidden_group_size_y
      - .offset:         160
        .size:           2
        .value_kind:     hidden_group_size_z
      - .offset:         162
        .size:           2
        .value_kind:     hidden_remainder_x
      - .offset:         164
        .size:           2
        .value_kind:     hidden_remainder_y
      - .offset:         166
        .size:           2
        .value_kind:     hidden_remainder_z
      - .offset:         184
        .size:           8
        .value_kind:     hidden_global_offset_x
      - .offset:         192
        .size:           8
        .value_kind:     hidden_global_offset_y
      - .offset:         200
        .size:           8
        .value_kind:     hidden_global_offset_z
      - .offset:         208
        .size:           2
        .value_kind:     hidden_grid_dims
      - .offset:         264
        .size:           4
        .value_kind:     hidden_dynamic_lds_size
    .group_segment_fixed_size: 0
    .kernarg_segment_align: 8
    .kernarg_segment_size: 400
    .language:       OpenCL C
    .language_version:
      - 2
      - 0
    .max_flat_workgroup_size: 1024
    .name:           _ZN5aiter22opus_moe_sorting_entryINS_16MoeSortingKernelINS_19MoeSortingProblemExIifLi1ELb1ELb1ELb0ELb1ELi0EEEEENS4_5KargsEEEvT0_
    .private_segment_fixed_size: 0
    .sgpr_count:     50
    .sgpr_spill_count: 0
    .symbol:         _ZN5aiter22opus_moe_sorting_entryINS_16MoeSortingKernelINS_19MoeSortingProblemExIifLi1ELb1ELb1ELb0ELb1ELi0EEEEENS4_5KargsEEEvT0_.kd
    .uniform_work_group_size: 1
    .uses_dynamic_stack: false
    .vgpr_count:     21
    .vgpr_spill_count: 0
    .wavefront_size: 64
  - .agpr_count:     0
    .args:
      - .offset:         0
        .size:           144
        .value_kind:     by_value
      - .offset:         144
        .size:           4
        .value_kind:     hidden_block_count_x
      - .offset:         148
        .size:           4
        .value_kind:     hidden_block_count_y
      - .offset:         152
        .size:           4
        .value_kind:     hidden_block_count_z
      - .offset:         156
        .size:           2
        .value_kind:     hidden_group_size_x
      - .offset:         158
        .size:           2
        .value_kind:     hidden_group_size_y
      - .offset:         160
        .size:           2
        .value_kind:     hidden_group_size_z
      - .offset:         162
        .size:           2
        .value_kind:     hidden_remainder_x
      - .offset:         164
        .size:           2
        .value_kind:     hidden_remainder_y
      - .offset:         166
        .size:           2
        .value_kind:     hidden_remainder_z
      - .offset:         184
        .size:           8
        .value_kind:     hidden_global_offset_x
      - .offset:         192
        .size:           8
        .value_kind:     hidden_global_offset_y
      - .offset:         200
        .size:           8
        .value_kind:     hidden_global_offset_z
      - .offset:         208
        .size:           2
        .value_kind:     hidden_grid_dims
      - .offset:         264
        .size:           4
        .value_kind:     hidden_dynamic_lds_size
    .group_segment_fixed_size: 0
    .kernarg_segment_align: 8
    .kernarg_segment_size: 400
    .language:       OpenCL C
    .language_version:
      - 2
      - 0
    .max_flat_workgroup_size: 1024
    .name:           _ZN5aiter22opus_moe_sorting_entryINS_16MoeSortingKernelINS_19MoeSortingProblemExIifLi8ELb0ELb1ELb1ELb1ELi0EEEEENS4_5KargsEEEvT0_
    .private_segment_fixed_size: 0
    .sgpr_count:     74
    .sgpr_spill_count: 0
    .symbol:         _ZN5aiter22opus_moe_sorting_entryINS_16MoeSortingKernelINS_19MoeSortingProblemExIifLi8ELb0ELb1ELb1ELb1ELi0EEEEENS4_5KargsEEEvT0_.kd
    .uniform_work_group_size: 1
    .uses_dynamic_stack: false
    .vgpr_count:     31
    .vgpr_spill_count: 0
    .wavefront_size: 64
  - .agpr_count:     0
    .args:
      - .offset:         0
        .size:           144
        .value_kind:     by_value
      - .offset:         144
        .size:           4
        .value_kind:     hidden_block_count_x
      - .offset:         148
        .size:           4
        .value_kind:     hidden_block_count_y
      - .offset:         152
        .size:           4
        .value_kind:     hidden_block_count_z
      - .offset:         156
        .size:           2
        .value_kind:     hidden_group_size_x
      - .offset:         158
        .size:           2
        .value_kind:     hidden_group_size_y
      - .offset:         160
        .size:           2
        .value_kind:     hidden_group_size_z
      - .offset:         162
        .size:           2
        .value_kind:     hidden_remainder_x
      - .offset:         164
        .size:           2
        .value_kind:     hidden_remainder_y
      - .offset:         166
        .size:           2
        .value_kind:     hidden_remainder_z
      - .offset:         184
        .size:           8
        .value_kind:     hidden_global_offset_x
      - .offset:         192
        .size:           8
        .value_kind:     hidden_global_offset_y
      - .offset:         200
        .size:           8
        .value_kind:     hidden_global_offset_z
      - .offset:         208
        .size:           2
        .value_kind:     hidden_grid_dims
      - .offset:         264
        .size:           4
        .value_kind:     hidden_dynamic_lds_size
    .group_segment_fixed_size: 0
    .kernarg_segment_align: 8
    .kernarg_segment_size: 400
    .language:       OpenCL C
    .language_version:
      - 2
      - 0
    .max_flat_workgroup_size: 1024
    .name:           _ZN5aiter22opus_moe_sorting_entryINS_16MoeSortingKernelINS_19MoeSortingProblemExIifLi4ELb0ELb1ELb1ELb1ELi0EEEEENS4_5KargsEEEvT0_
    .private_segment_fixed_size: 0
    .sgpr_count:     74
    .sgpr_spill_count: 0
    .symbol:         _ZN5aiter22opus_moe_sorting_entryINS_16MoeSortingKernelINS_19MoeSortingProblemExIifLi4ELb0ELb1ELb1ELb1ELi0EEEEENS4_5KargsEEEvT0_.kd
    .uniform_work_group_size: 1
    .uses_dynamic_stack: false
    .vgpr_count:     31
    .vgpr_spill_count: 0
    .wavefront_size: 64
  - .agpr_count:     0
    .args:
      - .offset:         0
        .size:           144
        .value_kind:     by_value
      - .offset:         144
        .size:           4
        .value_kind:     hidden_block_count_x
      - .offset:         148
        .size:           4
        .value_kind:     hidden_block_count_y
      - .offset:         152
        .size:           4
        .value_kind:     hidden_block_count_z
      - .offset:         156
        .size:           2
        .value_kind:     hidden_group_size_x
      - .offset:         158
        .size:           2
        .value_kind:     hidden_group_size_y
      - .offset:         160
        .size:           2
        .value_kind:     hidden_group_size_z
      - .offset:         162
        .size:           2
        .value_kind:     hidden_remainder_x
      - .offset:         164
        .size:           2
        .value_kind:     hidden_remainder_y
      - .offset:         166
        .size:           2
        .value_kind:     hidden_remainder_z
      - .offset:         184
        .size:           8
        .value_kind:     hidden_global_offset_x
      - .offset:         192
        .size:           8
        .value_kind:     hidden_global_offset_y
      - .offset:         200
        .size:           8
        .value_kind:     hidden_global_offset_z
      - .offset:         208
        .size:           2
        .value_kind:     hidden_grid_dims
      - .offset:         264
        .size:           4
        .value_kind:     hidden_dynamic_lds_size
    .group_segment_fixed_size: 0
    .kernarg_segment_align: 8
    .kernarg_segment_size: 400
    .language:       OpenCL C
    .language_version:
      - 2
      - 0
    .max_flat_workgroup_size: 1024
    .name:           _ZN5aiter22opus_moe_sorting_entryINS_16MoeSortingKernelINS_19MoeSortingProblemExIifLi2ELb0ELb1ELb1ELb1ELi0EEEEENS4_5KargsEEEvT0_
    .private_segment_fixed_size: 0
    .sgpr_count:     74
    .sgpr_spill_count: 0
    .symbol:         _ZN5aiter22opus_moe_sorting_entryINS_16MoeSortingKernelINS_19MoeSortingProblemExIifLi2ELb0ELb1ELb1ELb1ELi0EEEEENS4_5KargsEEEvT0_.kd
    .uniform_work_group_size: 1
    .uses_dynamic_stack: false
    .vgpr_count:     31
    .vgpr_spill_count: 0
    .wavefront_size: 64
  - .agpr_count:     0
    .args:
      - .offset:         0
        .size:           144
        .value_kind:     by_value
      - .offset:         144
        .size:           4
        .value_kind:     hidden_block_count_x
      - .offset:         148
        .size:           4
        .value_kind:     hidden_block_count_y
      - .offset:         152
        .size:           4
        .value_kind:     hidden_block_count_z
      - .offset:         156
        .size:           2
        .value_kind:     hidden_group_size_x
      - .offset:         158
        .size:           2
        .value_kind:     hidden_group_size_y
      - .offset:         160
        .size:           2
        .value_kind:     hidden_group_size_z
      - .offset:         162
        .size:           2
        .value_kind:     hidden_remainder_x
      - .offset:         164
        .size:           2
        .value_kind:     hidden_remainder_y
      - .offset:         166
        .size:           2
        .value_kind:     hidden_remainder_z
      - .offset:         184
        .size:           8
        .value_kind:     hidden_global_offset_x
      - .offset:         192
        .size:           8
        .value_kind:     hidden_global_offset_y
      - .offset:         200
        .size:           8
        .value_kind:     hidden_global_offset_z
      - .offset:         208
        .size:           2
        .value_kind:     hidden_grid_dims
      - .offset:         264
        .size:           4
        .value_kind:     hidden_dynamic_lds_size
    .group_segment_fixed_size: 0
    .kernarg_segment_align: 8
    .kernarg_segment_size: 400
    .language:       OpenCL C
    .language_version:
      - 2
      - 0
    .max_flat_workgroup_size: 1024
    .name:           _ZN5aiter22opus_moe_sorting_entryINS_16MoeSortingKernelINS_19MoeSortingProblemExIifLi1ELb0ELb1ELb1ELb1ELi0EEEEENS4_5KargsEEEvT0_
    .private_segment_fixed_size: 0
    .sgpr_count:     74
    .sgpr_spill_count: 0
    .symbol:         _ZN5aiter22opus_moe_sorting_entryINS_16MoeSortingKernelINS_19MoeSortingProblemExIifLi1ELb0ELb1ELb1ELb1ELi0EEEEENS4_5KargsEEEvT0_.kd
    .uniform_work_group_size: 1
    .uses_dynamic_stack: false
    .vgpr_count:     31
    .vgpr_spill_count: 0
    .wavefront_size: 64
  - .agpr_count:     0
    .args:
      - .offset:         0
        .size:           144
        .value_kind:     by_value
      - .offset:         144
        .size:           4
        .value_kind:     hidden_block_count_x
      - .offset:         148
        .size:           4
        .value_kind:     hidden_block_count_y
      - .offset:         152
        .size:           4
        .value_kind:     hidden_block_count_z
      - .offset:         156
        .size:           2
        .value_kind:     hidden_group_size_x
      - .offset:         158
        .size:           2
        .value_kind:     hidden_group_size_y
      - .offset:         160
        .size:           2
        .value_kind:     hidden_group_size_z
      - .offset:         162
        .size:           2
        .value_kind:     hidden_remainder_x
      - .offset:         164
        .size:           2
        .value_kind:     hidden_remainder_y
      - .offset:         166
        .size:           2
        .value_kind:     hidden_remainder_z
      - .offset:         184
        .size:           8
        .value_kind:     hidden_global_offset_x
      - .offset:         192
        .size:           8
        .value_kind:     hidden_global_offset_y
      - .offset:         200
        .size:           8
        .value_kind:     hidden_global_offset_z
      - .offset:         208
        .size:           2
        .value_kind:     hidden_grid_dims
      - .offset:         264
        .size:           4
        .value_kind:     hidden_dynamic_lds_size
    .group_segment_fixed_size: 0
    .kernarg_segment_align: 8
    .kernarg_segment_size: 400
    .language:       OpenCL C
    .language_version:
      - 2
      - 0
    .max_flat_workgroup_size: 1024
    .name:           _ZN5aiter22opus_moe_sorting_entryINS_16MoeSortingKernelINS_19MoeSortingProblemExIifLi8ELb0ELb1ELb0ELb1ELi0EEEEENS4_5KargsEEEvT0_
    .private_segment_fixed_size: 0
    .sgpr_count:     74
    .sgpr_spill_count: 0
    .symbol:         _ZN5aiter22opus_moe_sorting_entryINS_16MoeSortingKernelINS_19MoeSortingProblemExIifLi8ELb0ELb1ELb0ELb1ELi0EEEEENS4_5KargsEEEvT0_.kd
    .uniform_work_group_size: 1
    .uses_dynamic_stack: false
    .vgpr_count:     31
    .vgpr_spill_count: 0
    .wavefront_size: 64
  - .agpr_count:     0
    .args:
      - .offset:         0
        .size:           144
        .value_kind:     by_value
      - .offset:         144
        .size:           4
        .value_kind:     hidden_block_count_x
      - .offset:         148
        .size:           4
        .value_kind:     hidden_block_count_y
      - .offset:         152
        .size:           4
        .value_kind:     hidden_block_count_z
      - .offset:         156
        .size:           2
        .value_kind:     hidden_group_size_x
      - .offset:         158
        .size:           2
        .value_kind:     hidden_group_size_y
      - .offset:         160
        .size:           2
        .value_kind:     hidden_group_size_z
      - .offset:         162
        .size:           2
        .value_kind:     hidden_remainder_x
      - .offset:         164
        .size:           2
        .value_kind:     hidden_remainder_y
      - .offset:         166
        .size:           2
        .value_kind:     hidden_remainder_z
      - .offset:         184
        .size:           8
        .value_kind:     hidden_global_offset_x
      - .offset:         192
        .size:           8
        .value_kind:     hidden_global_offset_y
      - .offset:         200
        .size:           8
        .value_kind:     hidden_global_offset_z
      - .offset:         208
        .size:           2
        .value_kind:     hidden_grid_dims
      - .offset:         264
        .size:           4
        .value_kind:     hidden_dynamic_lds_size
    .group_segment_fixed_size: 0
    .kernarg_segment_align: 8
    .kernarg_segment_size: 400
    .language:       OpenCL C
    .language_version:
      - 2
      - 0
    .max_flat_workgroup_size: 1024
    .name:           _ZN5aiter22opus_moe_sorting_entryINS_16MoeSortingKernelINS_19MoeSortingProblemExIifLi4ELb0ELb1ELb0ELb1ELi0EEEEENS4_5KargsEEEvT0_
    .private_segment_fixed_size: 0
    .sgpr_count:     74
    .sgpr_spill_count: 0
    .symbol:         _ZN5aiter22opus_moe_sorting_entryINS_16MoeSortingKernelINS_19MoeSortingProblemExIifLi4ELb0ELb1ELb0ELb1ELi0EEEEENS4_5KargsEEEvT0_.kd
    .uniform_work_group_size: 1
    .uses_dynamic_stack: false
    .vgpr_count:     31
    .vgpr_spill_count: 0
    .wavefront_size: 64
  - .agpr_count:     0
    .args:
      - .offset:         0
        .size:           144
        .value_kind:     by_value
      - .offset:         144
        .size:           4
        .value_kind:     hidden_block_count_x
      - .offset:         148
        .size:           4
        .value_kind:     hidden_block_count_y
      - .offset:         152
        .size:           4
        .value_kind:     hidden_block_count_z
      - .offset:         156
        .size:           2
        .value_kind:     hidden_group_size_x
      - .offset:         158
        .size:           2
        .value_kind:     hidden_group_size_y
      - .offset:         160
        .size:           2
        .value_kind:     hidden_group_size_z
      - .offset:         162
        .size:           2
        .value_kind:     hidden_remainder_x
      - .offset:         164
        .size:           2
        .value_kind:     hidden_remainder_y
      - .offset:         166
        .size:           2
        .value_kind:     hidden_remainder_z
      - .offset:         184
        .size:           8
        .value_kind:     hidden_global_offset_x
      - .offset:         192
        .size:           8
        .value_kind:     hidden_global_offset_y
      - .offset:         200
        .size:           8
        .value_kind:     hidden_global_offset_z
      - .offset:         208
        .size:           2
        .value_kind:     hidden_grid_dims
      - .offset:         264
        .size:           4
        .value_kind:     hidden_dynamic_lds_size
    .group_segment_fixed_size: 0
    .kernarg_segment_align: 8
    .kernarg_segment_size: 400
    .language:       OpenCL C
    .language_version:
      - 2
      - 0
    .max_flat_workgroup_size: 1024
    .name:           _ZN5aiter22opus_moe_sorting_entryINS_16MoeSortingKernelINS_19MoeSortingProblemExIifLi2ELb0ELb1ELb0ELb1ELi0EEEEENS4_5KargsEEEvT0_
    .private_segment_fixed_size: 0
    .sgpr_count:     74
    .sgpr_spill_count: 0
    .symbol:         _ZN5aiter22opus_moe_sorting_entryINS_16MoeSortingKernelINS_19MoeSortingProblemExIifLi2ELb0ELb1ELb0ELb1ELi0EEEEENS4_5KargsEEEvT0_.kd
    .uniform_work_group_size: 1
    .uses_dynamic_stack: false
    .vgpr_count:     31
    .vgpr_spill_count: 0
    .wavefront_size: 64
  - .agpr_count:     0
    .args:
      - .offset:         0
        .size:           144
        .value_kind:     by_value
      - .offset:         144
        .size:           4
        .value_kind:     hidden_block_count_x
      - .offset:         148
        .size:           4
        .value_kind:     hidden_block_count_y
      - .offset:         152
        .size:           4
        .value_kind:     hidden_block_count_z
      - .offset:         156
        .size:           2
        .value_kind:     hidden_group_size_x
      - .offset:         158
        .size:           2
        .value_kind:     hidden_group_size_y
      - .offset:         160
        .size:           2
        .value_kind:     hidden_group_size_z
      - .offset:         162
        .size:           2
        .value_kind:     hidden_remainder_x
      - .offset:         164
        .size:           2
        .value_kind:     hidden_remainder_y
      - .offset:         166
        .size:           2
        .value_kind:     hidden_remainder_z
      - .offset:         184
        .size:           8
        .value_kind:     hidden_global_offset_x
      - .offset:         192
        .size:           8
        .value_kind:     hidden_global_offset_y
      - .offset:         200
        .size:           8
        .value_kind:     hidden_global_offset_z
      - .offset:         208
        .size:           2
        .value_kind:     hidden_grid_dims
      - .offset:         264
        .size:           4
        .value_kind:     hidden_dynamic_lds_size
    .group_segment_fixed_size: 0
    .kernarg_segment_align: 8
    .kernarg_segment_size: 400
    .language:       OpenCL C
    .language_version:
      - 2
      - 0
    .max_flat_workgroup_size: 1024
    .name:           _ZN5aiter22opus_moe_sorting_entryINS_16MoeSortingKernelINS_19MoeSortingProblemExIifLi1ELb0ELb1ELb0ELb1ELi0EEEEENS4_5KargsEEEvT0_
    .private_segment_fixed_size: 0
    .sgpr_count:     74
    .sgpr_spill_count: 0
    .symbol:         _ZN5aiter22opus_moe_sorting_entryINS_16MoeSortingKernelINS_19MoeSortingProblemExIifLi1ELb0ELb1ELb0ELb1ELi0EEEEENS4_5KargsEEEvT0_.kd
    .uniform_work_group_size: 1
    .uses_dynamic_stack: false
    .vgpr_count:     31
    .vgpr_spill_count: 0
    .wavefront_size: 64
  - .agpr_count:     0
    .args:
      - .offset:         0
        .size:           144
        .value_kind:     by_value
      - .offset:         144
        .size:           4
        .value_kind:     hidden_block_count_x
      - .offset:         148
        .size:           4
        .value_kind:     hidden_block_count_y
      - .offset:         152
        .size:           4
        .value_kind:     hidden_block_count_z
      - .offset:         156
        .size:           2
        .value_kind:     hidden_group_size_x
      - .offset:         158
        .size:           2
        .value_kind:     hidden_group_size_y
      - .offset:         160
        .size:           2
        .value_kind:     hidden_group_size_z
      - .offset:         162
        .size:           2
        .value_kind:     hidden_remainder_x
      - .offset:         164
        .size:           2
        .value_kind:     hidden_remainder_y
      - .offset:         166
        .size:           2
        .value_kind:     hidden_remainder_z
      - .offset:         184
        .size:           8
        .value_kind:     hidden_global_offset_x
      - .offset:         192
        .size:           8
        .value_kind:     hidden_global_offset_y
      - .offset:         200
        .size:           8
        .value_kind:     hidden_global_offset_z
      - .offset:         208
        .size:           2
        .value_kind:     hidden_grid_dims
      - .offset:         264
        .size:           4
        .value_kind:     hidden_dynamic_lds_size
    .group_segment_fixed_size: 0
    .kernarg_segment_align: 8
    .kernarg_segment_size: 400
    .language:       OpenCL C
    .language_version:
      - 2
      - 0
    .max_flat_workgroup_size: 1024
    .name:           _ZN5aiter22opus_moe_sorting_entryINS_16MoeSortingKernelINS_19MoeSortingProblemExIifLi8ELb1ELb0ELb1ELb1ELi0EEEEENS4_5KargsEEEvT0_
    .private_segment_fixed_size: 0
    .sgpr_count:     60
    .sgpr_spill_count: 0
    .symbol:         _ZN5aiter22opus_moe_sorting_entryINS_16MoeSortingKernelINS_19MoeSortingProblemExIifLi8ELb1ELb0ELb1ELb1ELi0EEEEENS4_5KargsEEEvT0_.kd
    .uniform_work_group_size: 1
    .uses_dynamic_stack: false
    .vgpr_count:     29
    .vgpr_spill_count: 0
    .wavefront_size: 64
  - .agpr_count:     0
    .args:
      - .offset:         0
        .size:           144
        .value_kind:     by_value
      - .offset:         144
        .size:           4
        .value_kind:     hidden_block_count_x
      - .offset:         148
        .size:           4
        .value_kind:     hidden_block_count_y
      - .offset:         152
        .size:           4
        .value_kind:     hidden_block_count_z
      - .offset:         156
        .size:           2
        .value_kind:     hidden_group_size_x
      - .offset:         158
        .size:           2
        .value_kind:     hidden_group_size_y
      - .offset:         160
        .size:           2
        .value_kind:     hidden_group_size_z
      - .offset:         162
        .size:           2
        .value_kind:     hidden_remainder_x
      - .offset:         164
        .size:           2
        .value_kind:     hidden_remainder_y
      - .offset:         166
        .size:           2
        .value_kind:     hidden_remainder_z
      - .offset:         184
        .size:           8
        .value_kind:     hidden_global_offset_x
      - .offset:         192
        .size:           8
        .value_kind:     hidden_global_offset_y
      - .offset:         200
        .size:           8
        .value_kind:     hidden_global_offset_z
      - .offset:         208
        .size:           2
        .value_kind:     hidden_grid_dims
      - .offset:         264
        .size:           4
        .value_kind:     hidden_dynamic_lds_size
    .group_segment_fixed_size: 0
    .kernarg_segment_align: 8
    .kernarg_segment_size: 400
    .language:       OpenCL C
    .language_version:
      - 2
      - 0
    .max_flat_workgroup_size: 1024
    .name:           _ZN5aiter22opus_moe_sorting_entryINS_16MoeSortingKernelINS_19MoeSortingProblemExIifLi4ELb1ELb0ELb1ELb1ELi0EEEEENS4_5KargsEEEvT0_
    .private_segment_fixed_size: 0
    .sgpr_count:     50
    .sgpr_spill_count: 0
    .symbol:         _ZN5aiter22opus_moe_sorting_entryINS_16MoeSortingKernelINS_19MoeSortingProblemExIifLi4ELb1ELb0ELb1ELb1ELi0EEEEENS4_5KargsEEEvT0_.kd
    .uniform_work_group_size: 1
    .uses_dynamic_stack: false
    .vgpr_count:     27
    .vgpr_spill_count: 0
    .wavefront_size: 64
  - .agpr_count:     0
    .args:
      - .offset:         0
        .size:           144
        .value_kind:     by_value
      - .offset:         144
        .size:           4
        .value_kind:     hidden_block_count_x
      - .offset:         148
        .size:           4
        .value_kind:     hidden_block_count_y
      - .offset:         152
        .size:           4
        .value_kind:     hidden_block_count_z
      - .offset:         156
        .size:           2
        .value_kind:     hidden_group_size_x
      - .offset:         158
        .size:           2
        .value_kind:     hidden_group_size_y
      - .offset:         160
        .size:           2
        .value_kind:     hidden_group_size_z
      - .offset:         162
        .size:           2
        .value_kind:     hidden_remainder_x
      - .offset:         164
        .size:           2
        .value_kind:     hidden_remainder_y
      - .offset:         166
        .size:           2
        .value_kind:     hidden_remainder_z
      - .offset:         184
        .size:           8
        .value_kind:     hidden_global_offset_x
      - .offset:         192
        .size:           8
        .value_kind:     hidden_global_offset_y
      - .offset:         200
        .size:           8
        .value_kind:     hidden_global_offset_z
      - .offset:         208
        .size:           2
        .value_kind:     hidden_grid_dims
      - .offset:         264
        .size:           4
        .value_kind:     hidden_dynamic_lds_size
    .group_segment_fixed_size: 0
    .kernarg_segment_align: 8
    .kernarg_segment_size: 400
    .language:       OpenCL C
    .language_version:
      - 2
      - 0
    .max_flat_workgroup_size: 1024
    .name:           _ZN5aiter22opus_moe_sorting_entryINS_16MoeSortingKernelINS_19MoeSortingProblemExIifLi2ELb1ELb0ELb1ELb1ELi0EEEEENS4_5KargsEEEvT0_
    .private_segment_fixed_size: 0
    .sgpr_count:     48
    .sgpr_spill_count: 0
    .symbol:         _ZN5aiter22opus_moe_sorting_entryINS_16MoeSortingKernelINS_19MoeSortingProblemExIifLi2ELb1ELb0ELb1ELb1ELi0EEEEENS4_5KargsEEEvT0_.kd
    .uniform_work_group_size: 1
    .uses_dynamic_stack: false
    .vgpr_count:     24
    .vgpr_spill_count: 0
    .wavefront_size: 64
  - .agpr_count:     0
    .args:
      - .offset:         0
        .size:           144
        .value_kind:     by_value
      - .offset:         144
        .size:           4
        .value_kind:     hidden_block_count_x
      - .offset:         148
        .size:           4
        .value_kind:     hidden_block_count_y
      - .offset:         152
        .size:           4
        .value_kind:     hidden_block_count_z
      - .offset:         156
        .size:           2
        .value_kind:     hidden_group_size_x
      - .offset:         158
        .size:           2
        .value_kind:     hidden_group_size_y
      - .offset:         160
        .size:           2
        .value_kind:     hidden_group_size_z
      - .offset:         162
        .size:           2
        .value_kind:     hidden_remainder_x
      - .offset:         164
        .size:           2
        .value_kind:     hidden_remainder_y
      - .offset:         166
        .size:           2
        .value_kind:     hidden_remainder_z
      - .offset:         184
        .size:           8
        .value_kind:     hidden_global_offset_x
      - .offset:         192
        .size:           8
        .value_kind:     hidden_global_offset_y
      - .offset:         200
        .size:           8
        .value_kind:     hidden_global_offset_z
      - .offset:         208
        .size:           2
        .value_kind:     hidden_grid_dims
      - .offset:         264
        .size:           4
        .value_kind:     hidden_dynamic_lds_size
    .group_segment_fixed_size: 0
    .kernarg_segment_align: 8
    .kernarg_segment_size: 400
    .language:       OpenCL C
    .language_version:
      - 2
      - 0
    .max_flat_workgroup_size: 1024
    .name:           _ZN5aiter22opus_moe_sorting_entryINS_16MoeSortingKernelINS_19MoeSortingProblemExIifLi1ELb1ELb0ELb1ELb1ELi0EEEEENS4_5KargsEEEvT0_
    .private_segment_fixed_size: 0
    .sgpr_count:     48
    .sgpr_spill_count: 0
    .symbol:         _ZN5aiter22opus_moe_sorting_entryINS_16MoeSortingKernelINS_19MoeSortingProblemExIifLi1ELb1ELb0ELb1ELb1ELi0EEEEENS4_5KargsEEEvT0_.kd
    .uniform_work_group_size: 1
    .uses_dynamic_stack: false
    .vgpr_count:     24
    .vgpr_spill_count: 0
    .wavefront_size: 64
  - .agpr_count:     0
    .args:
      - .offset:         0
        .size:           144
        .value_kind:     by_value
      - .offset:         144
        .size:           4
        .value_kind:     hidden_block_count_x
      - .offset:         148
        .size:           4
        .value_kind:     hidden_block_count_y
      - .offset:         152
        .size:           4
        .value_kind:     hidden_block_count_z
      - .offset:         156
        .size:           2
        .value_kind:     hidden_group_size_x
      - .offset:         158
        .size:           2
        .value_kind:     hidden_group_size_y
      - .offset:         160
        .size:           2
        .value_kind:     hidden_group_size_z
      - .offset:         162
        .size:           2
        .value_kind:     hidden_remainder_x
      - .offset:         164
        .size:           2
        .value_kind:     hidden_remainder_y
      - .offset:         166
        .size:           2
        .value_kind:     hidden_remainder_z
      - .offset:         184
        .size:           8
        .value_kind:     hidden_global_offset_x
      - .offset:         192
        .size:           8
        .value_kind:     hidden_global_offset_y
      - .offset:         200
        .size:           8
        .value_kind:     hidden_global_offset_z
      - .offset:         208
        .size:           2
        .value_kind:     hidden_grid_dims
      - .offset:         264
        .size:           4
        .value_kind:     hidden_dynamic_lds_size
    .group_segment_fixed_size: 0
    .kernarg_segment_align: 8
    .kernarg_segment_size: 400
    .language:       OpenCL C
    .language_version:
      - 2
      - 0
    .max_flat_workgroup_size: 1024
    .name:           _ZN5aiter22opus_moe_sorting_entryINS_16MoeSortingKernelINS_19MoeSortingProblemExIifLi8ELb1ELb0ELb0ELb1ELi0EEEEENS4_5KargsEEEvT0_
    .private_segment_fixed_size: 0
    .sgpr_count:     60
    .sgpr_spill_count: 0
    .symbol:         _ZN5aiter22opus_moe_sorting_entryINS_16MoeSortingKernelINS_19MoeSortingProblemExIifLi8ELb1ELb0ELb0ELb1ELi0EEEEENS4_5KargsEEEvT0_.kd
    .uniform_work_group_size: 1
    .uses_dynamic_stack: false
    .vgpr_count:     29
    .vgpr_spill_count: 0
    .wavefront_size: 64
  - .agpr_count:     0
    .args:
      - .offset:         0
        .size:           144
        .value_kind:     by_value
      - .offset:         144
        .size:           4
        .value_kind:     hidden_block_count_x
      - .offset:         148
        .size:           4
        .value_kind:     hidden_block_count_y
      - .offset:         152
        .size:           4
        .value_kind:     hidden_block_count_z
      - .offset:         156
        .size:           2
        .value_kind:     hidden_group_size_x
      - .offset:         158
        .size:           2
        .value_kind:     hidden_group_size_y
      - .offset:         160
        .size:           2
        .value_kind:     hidden_group_size_z
      - .offset:         162
        .size:           2
        .value_kind:     hidden_remainder_x
      - .offset:         164
        .size:           2
        .value_kind:     hidden_remainder_y
      - .offset:         166
        .size:           2
        .value_kind:     hidden_remainder_z
      - .offset:         184
        .size:           8
        .value_kind:     hidden_global_offset_x
      - .offset:         192
        .size:           8
        .value_kind:     hidden_global_offset_y
      - .offset:         200
        .size:           8
        .value_kind:     hidden_global_offset_z
      - .offset:         208
        .size:           2
        .value_kind:     hidden_grid_dims
      - .offset:         264
        .size:           4
        .value_kind:     hidden_dynamic_lds_size
    .group_segment_fixed_size: 0
    .kernarg_segment_align: 8
    .kernarg_segment_size: 400
    .language:       OpenCL C
    .language_version:
      - 2
      - 0
    .max_flat_workgroup_size: 1024
    .name:           _ZN5aiter22opus_moe_sorting_entryINS_16MoeSortingKernelINS_19MoeSortingProblemExIifLi4ELb1ELb0ELb0ELb1ELi0EEEEENS4_5KargsEEEvT0_
    .private_segment_fixed_size: 0
    .sgpr_count:     52
    .sgpr_spill_count: 0
    .symbol:         _ZN5aiter22opus_moe_sorting_entryINS_16MoeSortingKernelINS_19MoeSortingProblemExIifLi4ELb1ELb0ELb0ELb1ELi0EEEEENS4_5KargsEEEvT0_.kd
    .uniform_work_group_size: 1
    .uses_dynamic_stack: false
    .vgpr_count:     27
    .vgpr_spill_count: 0
    .wavefront_size: 64
  - .agpr_count:     0
    .args:
      - .offset:         0
        .size:           144
        .value_kind:     by_value
      - .offset:         144
        .size:           4
        .value_kind:     hidden_block_count_x
      - .offset:         148
        .size:           4
        .value_kind:     hidden_block_count_y
      - .offset:         152
        .size:           4
        .value_kind:     hidden_block_count_z
      - .offset:         156
        .size:           2
        .value_kind:     hidden_group_size_x
      - .offset:         158
        .size:           2
        .value_kind:     hidden_group_size_y
      - .offset:         160
        .size:           2
        .value_kind:     hidden_group_size_z
      - .offset:         162
        .size:           2
        .value_kind:     hidden_remainder_x
      - .offset:         164
        .size:           2
        .value_kind:     hidden_remainder_y
      - .offset:         166
        .size:           2
        .value_kind:     hidden_remainder_z
      - .offset:         184
        .size:           8
        .value_kind:     hidden_global_offset_x
      - .offset:         192
        .size:           8
        .value_kind:     hidden_global_offset_y
      - .offset:         200
        .size:           8
        .value_kind:     hidden_global_offset_z
      - .offset:         208
        .size:           2
        .value_kind:     hidden_grid_dims
      - .offset:         264
        .size:           4
        .value_kind:     hidden_dynamic_lds_size
    .group_segment_fixed_size: 0
    .kernarg_segment_align: 8
    .kernarg_segment_size: 400
    .language:       OpenCL C
    .language_version:
      - 2
      - 0
    .max_flat_workgroup_size: 1024
    .name:           _ZN5aiter22opus_moe_sorting_entryINS_16MoeSortingKernelINS_19MoeSortingProblemExIifLi2ELb1ELb0ELb0ELb1ELi0EEEEENS4_5KargsEEEvT0_
    .private_segment_fixed_size: 0
    .sgpr_count:     48
    .sgpr_spill_count: 0
    .symbol:         _ZN5aiter22opus_moe_sorting_entryINS_16MoeSortingKernelINS_19MoeSortingProblemExIifLi2ELb1ELb0ELb0ELb1ELi0EEEEENS4_5KargsEEEvT0_.kd
    .uniform_work_group_size: 1
    .uses_dynamic_stack: false
    .vgpr_count:     24
    .vgpr_spill_count: 0
    .wavefront_size: 64
  - .agpr_count:     0
    .args:
      - .offset:         0
        .size:           144
        .value_kind:     by_value
      - .offset:         144
        .size:           4
        .value_kind:     hidden_block_count_x
      - .offset:         148
        .size:           4
        .value_kind:     hidden_block_count_y
      - .offset:         152
        .size:           4
        .value_kind:     hidden_block_count_z
      - .offset:         156
        .size:           2
        .value_kind:     hidden_group_size_x
      - .offset:         158
        .size:           2
        .value_kind:     hidden_group_size_y
      - .offset:         160
        .size:           2
        .value_kind:     hidden_group_size_z
      - .offset:         162
        .size:           2
        .value_kind:     hidden_remainder_x
      - .offset:         164
        .size:           2
        .value_kind:     hidden_remainder_y
      - .offset:         166
        .size:           2
        .value_kind:     hidden_remainder_z
      - .offset:         184
        .size:           8
        .value_kind:     hidden_global_offset_x
      - .offset:         192
        .size:           8
        .value_kind:     hidden_global_offset_y
      - .offset:         200
        .size:           8
        .value_kind:     hidden_global_offset_z
      - .offset:         208
        .size:           2
        .value_kind:     hidden_grid_dims
      - .offset:         264
        .size:           4
        .value_kind:     hidden_dynamic_lds_size
    .group_segment_fixed_size: 0
    .kernarg_segment_align: 8
    .kernarg_segment_size: 400
    .language:       OpenCL C
    .language_version:
      - 2
      - 0
    .max_flat_workgroup_size: 1024
    .name:           _ZN5aiter22opus_moe_sorting_entryINS_16MoeSortingKernelINS_19MoeSortingProblemExIifLi1ELb1ELb0ELb0ELb1ELi0EEEEENS4_5KargsEEEvT0_
    .private_segment_fixed_size: 0
    .sgpr_count:     48
    .sgpr_spill_count: 0
    .symbol:         _ZN5aiter22opus_moe_sorting_entryINS_16MoeSortingKernelINS_19MoeSortingProblemExIifLi1ELb1ELb0ELb0ELb1ELi0EEEEENS4_5KargsEEEvT0_.kd
    .uniform_work_group_size: 1
    .uses_dynamic_stack: false
    .vgpr_count:     24
    .vgpr_spill_count: 0
    .wavefront_size: 64
  - .agpr_count:     0
    .args:
      - .offset:         0
        .size:           144
        .value_kind:     by_value
      - .offset:         144
        .size:           4
        .value_kind:     hidden_block_count_x
      - .offset:         148
        .size:           4
        .value_kind:     hidden_block_count_y
      - .offset:         152
        .size:           4
        .value_kind:     hidden_block_count_z
      - .offset:         156
        .size:           2
        .value_kind:     hidden_group_size_x
      - .offset:         158
        .size:           2
        .value_kind:     hidden_group_size_y
      - .offset:         160
        .size:           2
        .value_kind:     hidden_group_size_z
      - .offset:         162
        .size:           2
        .value_kind:     hidden_remainder_x
      - .offset:         164
        .size:           2
        .value_kind:     hidden_remainder_y
      - .offset:         166
        .size:           2
        .value_kind:     hidden_remainder_z
      - .offset:         184
        .size:           8
        .value_kind:     hidden_global_offset_x
      - .offset:         192
        .size:           8
        .value_kind:     hidden_global_offset_y
      - .offset:         200
        .size:           8
        .value_kind:     hidden_global_offset_z
      - .offset:         208
        .size:           2
        .value_kind:     hidden_grid_dims
      - .offset:         264
        .size:           4
        .value_kind:     hidden_dynamic_lds_size
    .group_segment_fixed_size: 0
    .kernarg_segment_align: 8
    .kernarg_segment_size: 400
    .language:       OpenCL C
    .language_version:
      - 2
      - 0
    .max_flat_workgroup_size: 1024
    .name:           _ZN5aiter22opus_moe_sorting_entryINS_16MoeSortingKernelINS_19MoeSortingProblemExIifLi8ELb0ELb0ELb1ELb1ELi0EEEEENS4_5KargsEEEvT0_
    .private_segment_fixed_size: 0
    .sgpr_count:     70
    .sgpr_spill_count: 0
    .symbol:         _ZN5aiter22opus_moe_sorting_entryINS_16MoeSortingKernelINS_19MoeSortingProblemExIifLi8ELb0ELb0ELb1ELb1ELi0EEEEENS4_5KargsEEEvT0_.kd
    .uniform_work_group_size: 1
    .uses_dynamic_stack: false
    .vgpr_count:     31
    .vgpr_spill_count: 0
    .wavefront_size: 64
  - .agpr_count:     0
    .args:
      - .offset:         0
        .size:           144
        .value_kind:     by_value
      - .offset:         144
        .size:           4
        .value_kind:     hidden_block_count_x
      - .offset:         148
        .size:           4
        .value_kind:     hidden_block_count_y
      - .offset:         152
        .size:           4
        .value_kind:     hidden_block_count_z
      - .offset:         156
        .size:           2
        .value_kind:     hidden_group_size_x
      - .offset:         158
        .size:           2
        .value_kind:     hidden_group_size_y
      - .offset:         160
        .size:           2
        .value_kind:     hidden_group_size_z
      - .offset:         162
        .size:           2
        .value_kind:     hidden_remainder_x
      - .offset:         164
        .size:           2
        .value_kind:     hidden_remainder_y
      - .offset:         166
        .size:           2
        .value_kind:     hidden_remainder_z
      - .offset:         184
        .size:           8
        .value_kind:     hidden_global_offset_x
      - .offset:         192
        .size:           8
        .value_kind:     hidden_global_offset_y
      - .offset:         200
        .size:           8
        .value_kind:     hidden_global_offset_z
      - .offset:         208
        .size:           2
        .value_kind:     hidden_grid_dims
      - .offset:         264
        .size:           4
        .value_kind:     hidden_dynamic_lds_size
    .group_segment_fixed_size: 0
    .kernarg_segment_align: 8
    .kernarg_segment_size: 400
    .language:       OpenCL C
    .language_version:
      - 2
      - 0
    .max_flat_workgroup_size: 1024
    .name:           _ZN5aiter22opus_moe_sorting_entryINS_16MoeSortingKernelINS_19MoeSortingProblemExIifLi4ELb0ELb0ELb1ELb1ELi0EEEEENS4_5KargsEEEvT0_
    .private_segment_fixed_size: 0
    .sgpr_count:     70
    .sgpr_spill_count: 0
    .symbol:         _ZN5aiter22opus_moe_sorting_entryINS_16MoeSortingKernelINS_19MoeSortingProblemExIifLi4ELb0ELb0ELb1ELb1ELi0EEEEENS4_5KargsEEEvT0_.kd
    .uniform_work_group_size: 1
    .uses_dynamic_stack: false
    .vgpr_count:     31
    .vgpr_spill_count: 0
    .wavefront_size: 64
  - .agpr_count:     0
    .args:
      - .offset:         0
        .size:           144
        .value_kind:     by_value
      - .offset:         144
        .size:           4
        .value_kind:     hidden_block_count_x
      - .offset:         148
        .size:           4
        .value_kind:     hidden_block_count_y
      - .offset:         152
        .size:           4
        .value_kind:     hidden_block_count_z
      - .offset:         156
        .size:           2
        .value_kind:     hidden_group_size_x
      - .offset:         158
        .size:           2
        .value_kind:     hidden_group_size_y
      - .offset:         160
        .size:           2
        .value_kind:     hidden_group_size_z
      - .offset:         162
        .size:           2
        .value_kind:     hidden_remainder_x
      - .offset:         164
        .size:           2
        .value_kind:     hidden_remainder_y
      - .offset:         166
        .size:           2
        .value_kind:     hidden_remainder_z
      - .offset:         184
        .size:           8
        .value_kind:     hidden_global_offset_x
      - .offset:         192
        .size:           8
        .value_kind:     hidden_global_offset_y
      - .offset:         200
        .size:           8
        .value_kind:     hidden_global_offset_z
      - .offset:         208
        .size:           2
        .value_kind:     hidden_grid_dims
      - .offset:         264
        .size:           4
        .value_kind:     hidden_dynamic_lds_size
    .group_segment_fixed_size: 0
    .kernarg_segment_align: 8
    .kernarg_segment_size: 400
    .language:       OpenCL C
    .language_version:
      - 2
      - 0
    .max_flat_workgroup_size: 1024
    .name:           _ZN5aiter22opus_moe_sorting_entryINS_16MoeSortingKernelINS_19MoeSortingProblemExIifLi2ELb0ELb0ELb1ELb1ELi0EEEEENS4_5KargsEEEvT0_
    .private_segment_fixed_size: 0
    .sgpr_count:     70
    .sgpr_spill_count: 0
    .symbol:         _ZN5aiter22opus_moe_sorting_entryINS_16MoeSortingKernelINS_19MoeSortingProblemExIifLi2ELb0ELb0ELb1ELb1ELi0EEEEENS4_5KargsEEEvT0_.kd
    .uniform_work_group_size: 1
    .uses_dynamic_stack: false
    .vgpr_count:     31
    .vgpr_spill_count: 0
    .wavefront_size: 64
  - .agpr_count:     0
    .args:
      - .offset:         0
        .size:           144
        .value_kind:     by_value
      - .offset:         144
        .size:           4
        .value_kind:     hidden_block_count_x
      - .offset:         148
        .size:           4
        .value_kind:     hidden_block_count_y
      - .offset:         152
        .size:           4
        .value_kind:     hidden_block_count_z
      - .offset:         156
        .size:           2
        .value_kind:     hidden_group_size_x
      - .offset:         158
        .size:           2
        .value_kind:     hidden_group_size_y
      - .offset:         160
        .size:           2
        .value_kind:     hidden_group_size_z
      - .offset:         162
        .size:           2
        .value_kind:     hidden_remainder_x
      - .offset:         164
        .size:           2
        .value_kind:     hidden_remainder_y
      - .offset:         166
        .size:           2
        .value_kind:     hidden_remainder_z
      - .offset:         184
        .size:           8
        .value_kind:     hidden_global_offset_x
      - .offset:         192
        .size:           8
        .value_kind:     hidden_global_offset_y
      - .offset:         200
        .size:           8
        .value_kind:     hidden_global_offset_z
      - .offset:         208
        .size:           2
        .value_kind:     hidden_grid_dims
      - .offset:         264
        .size:           4
        .value_kind:     hidden_dynamic_lds_size
    .group_segment_fixed_size: 0
    .kernarg_segment_align: 8
    .kernarg_segment_size: 400
    .language:       OpenCL C
    .language_version:
      - 2
      - 0
    .max_flat_workgroup_size: 1024
    .name:           _ZN5aiter22opus_moe_sorting_entryINS_16MoeSortingKernelINS_19MoeSortingProblemExIifLi1ELb0ELb0ELb1ELb1ELi0EEEEENS4_5KargsEEEvT0_
    .private_segment_fixed_size: 0
    .sgpr_count:     70
    .sgpr_spill_count: 0
    .symbol:         _ZN5aiter22opus_moe_sorting_entryINS_16MoeSortingKernelINS_19MoeSortingProblemExIifLi1ELb0ELb0ELb1ELb1ELi0EEEEENS4_5KargsEEEvT0_.kd
    .uniform_work_group_size: 1
    .uses_dynamic_stack: false
    .vgpr_count:     31
    .vgpr_spill_count: 0
    .wavefront_size: 64
  - .agpr_count:     0
    .args:
      - .offset:         0
        .size:           144
        .value_kind:     by_value
      - .offset:         144
        .size:           4
        .value_kind:     hidden_block_count_x
      - .offset:         148
        .size:           4
        .value_kind:     hidden_block_count_y
      - .offset:         152
        .size:           4
        .value_kind:     hidden_block_count_z
      - .offset:         156
        .size:           2
        .value_kind:     hidden_group_size_x
      - .offset:         158
        .size:           2
        .value_kind:     hidden_group_size_y
      - .offset:         160
        .size:           2
        .value_kind:     hidden_group_size_z
      - .offset:         162
        .size:           2
        .value_kind:     hidden_remainder_x
      - .offset:         164
        .size:           2
        .value_kind:     hidden_remainder_y
      - .offset:         166
        .size:           2
        .value_kind:     hidden_remainder_z
      - .offset:         184
        .size:           8
        .value_kind:     hidden_global_offset_x
      - .offset:         192
        .size:           8
        .value_kind:     hidden_global_offset_y
      - .offset:         200
        .size:           8
        .value_kind:     hidden_global_offset_z
      - .offset:         208
        .size:           2
        .value_kind:     hidden_grid_dims
      - .offset:         264
        .size:           4
        .value_kind:     hidden_dynamic_lds_size
    .group_segment_fixed_size: 0
    .kernarg_segment_align: 8
    .kernarg_segment_size: 400
    .language:       OpenCL C
    .language_version:
      - 2
      - 0
    .max_flat_workgroup_size: 1024
    .name:           _ZN5aiter22opus_moe_sorting_entryINS_16MoeSortingKernelINS_19MoeSortingProblemExIifLi8ELb0ELb0ELb0ELb1ELi0EEEEENS4_5KargsEEEvT0_
    .private_segment_fixed_size: 0
    .sgpr_count:     70
    .sgpr_spill_count: 0
    .symbol:         _ZN5aiter22opus_moe_sorting_entryINS_16MoeSortingKernelINS_19MoeSortingProblemExIifLi8ELb0ELb0ELb0ELb1ELi0EEEEENS4_5KargsEEEvT0_.kd
    .uniform_work_group_size: 1
    .uses_dynamic_stack: false
    .vgpr_count:     31
    .vgpr_spill_count: 0
    .wavefront_size: 64
  - .agpr_count:     0
    .args:
      - .offset:         0
        .size:           144
        .value_kind:     by_value
      - .offset:         144
        .size:           4
        .value_kind:     hidden_block_count_x
      - .offset:         148
        .size:           4
        .value_kind:     hidden_block_count_y
      - .offset:         152
        .size:           4
        .value_kind:     hidden_block_count_z
      - .offset:         156
        .size:           2
        .value_kind:     hidden_group_size_x
      - .offset:         158
        .size:           2
        .value_kind:     hidden_group_size_y
      - .offset:         160
        .size:           2
        .value_kind:     hidden_group_size_z
      - .offset:         162
        .size:           2
        .value_kind:     hidden_remainder_x
      - .offset:         164
        .size:           2
        .value_kind:     hidden_remainder_y
      - .offset:         166
        .size:           2
        .value_kind:     hidden_remainder_z
      - .offset:         184
        .size:           8
        .value_kind:     hidden_global_offset_x
      - .offset:         192
        .size:           8
        .value_kind:     hidden_global_offset_y
      - .offset:         200
        .size:           8
        .value_kind:     hidden_global_offset_z
      - .offset:         208
        .size:           2
        .value_kind:     hidden_grid_dims
      - .offset:         264
        .size:           4
        .value_kind:     hidden_dynamic_lds_size
    .group_segment_fixed_size: 0
    .kernarg_segment_align: 8
    .kernarg_segment_size: 400
    .language:       OpenCL C
    .language_version:
      - 2
      - 0
    .max_flat_workgroup_size: 1024
    .name:           _ZN5aiter22opus_moe_sorting_entryINS_16MoeSortingKernelINS_19MoeSortingProblemExIifLi4ELb0ELb0ELb0ELb1ELi0EEEEENS4_5KargsEEEvT0_
    .private_segment_fixed_size: 0
    .sgpr_count:     70
    .sgpr_spill_count: 0
    .symbol:         _ZN5aiter22opus_moe_sorting_entryINS_16MoeSortingKernelINS_19MoeSortingProblemExIifLi4ELb0ELb0ELb0ELb1ELi0EEEEENS4_5KargsEEEvT0_.kd
    .uniform_work_group_size: 1
    .uses_dynamic_stack: false
    .vgpr_count:     31
    .vgpr_spill_count: 0
    .wavefront_size: 64
  - .agpr_count:     0
    .args:
      - .offset:         0
        .size:           144
        .value_kind:     by_value
      - .offset:         144
        .size:           4
        .value_kind:     hidden_block_count_x
      - .offset:         148
        .size:           4
        .value_kind:     hidden_block_count_y
      - .offset:         152
        .size:           4
        .value_kind:     hidden_block_count_z
      - .offset:         156
        .size:           2
        .value_kind:     hidden_group_size_x
      - .offset:         158
        .size:           2
        .value_kind:     hidden_group_size_y
      - .offset:         160
        .size:           2
        .value_kind:     hidden_group_size_z
      - .offset:         162
        .size:           2
        .value_kind:     hidden_remainder_x
      - .offset:         164
        .size:           2
        .value_kind:     hidden_remainder_y
      - .offset:         166
        .size:           2
        .value_kind:     hidden_remainder_z
      - .offset:         184
        .size:           8
        .value_kind:     hidden_global_offset_x
      - .offset:         192
        .size:           8
        .value_kind:     hidden_global_offset_y
      - .offset:         200
        .size:           8
        .value_kind:     hidden_global_offset_z
      - .offset:         208
        .size:           2
        .value_kind:     hidden_grid_dims
      - .offset:         264
        .size:           4
        .value_kind:     hidden_dynamic_lds_size
    .group_segment_fixed_size: 0
    .kernarg_segment_align: 8
    .kernarg_segment_size: 400
    .language:       OpenCL C
    .language_version:
      - 2
      - 0
    .max_flat_workgroup_size: 1024
    .name:           _ZN5aiter22opus_moe_sorting_entryINS_16MoeSortingKernelINS_19MoeSortingProblemExIifLi2ELb0ELb0ELb0ELb1ELi0EEEEENS4_5KargsEEEvT0_
    .private_segment_fixed_size: 0
    .sgpr_count:     70
    .sgpr_spill_count: 0
    .symbol:         _ZN5aiter22opus_moe_sorting_entryINS_16MoeSortingKernelINS_19MoeSortingProblemExIifLi2ELb0ELb0ELb0ELb1ELi0EEEEENS4_5KargsEEEvT0_.kd
    .uniform_work_group_size: 1
    .uses_dynamic_stack: false
    .vgpr_count:     31
    .vgpr_spill_count: 0
    .wavefront_size: 64
  - .agpr_count:     0
    .args:
      - .offset:         0
        .size:           144
        .value_kind:     by_value
      - .offset:         144
        .size:           4
        .value_kind:     hidden_block_count_x
      - .offset:         148
        .size:           4
        .value_kind:     hidden_block_count_y
      - .offset:         152
        .size:           4
        .value_kind:     hidden_block_count_z
      - .offset:         156
        .size:           2
        .value_kind:     hidden_group_size_x
      - .offset:         158
        .size:           2
        .value_kind:     hidden_group_size_y
      - .offset:         160
        .size:           2
        .value_kind:     hidden_group_size_z
      - .offset:         162
        .size:           2
        .value_kind:     hidden_remainder_x
      - .offset:         164
        .size:           2
        .value_kind:     hidden_remainder_y
      - .offset:         166
        .size:           2
        .value_kind:     hidden_remainder_z
      - .offset:         184
        .size:           8
        .value_kind:     hidden_global_offset_x
      - .offset:         192
        .size:           8
        .value_kind:     hidden_global_offset_y
      - .offset:         200
        .size:           8
        .value_kind:     hidden_global_offset_z
      - .offset:         208
        .size:           2
        .value_kind:     hidden_grid_dims
      - .offset:         264
        .size:           4
        .value_kind:     hidden_dynamic_lds_size
    .group_segment_fixed_size: 0
    .kernarg_segment_align: 8
    .kernarg_segment_size: 400
    .language:       OpenCL C
    .language_version:
      - 2
      - 0
    .max_flat_workgroup_size: 1024
    .name:           _ZN5aiter22opus_moe_sorting_entryINS_16MoeSortingKernelINS_19MoeSortingProblemExIifLi1ELb0ELb0ELb0ELb1ELi0EEEEENS4_5KargsEEEvT0_
    .private_segment_fixed_size: 0
    .sgpr_count:     70
    .sgpr_spill_count: 0
    .symbol:         _ZN5aiter22opus_moe_sorting_entryINS_16MoeSortingKernelINS_19MoeSortingProblemExIifLi1ELb0ELb0ELb0ELb1ELi0EEEEENS4_5KargsEEEvT0_.kd
    .uniform_work_group_size: 1
    .uses_dynamic_stack: false
    .vgpr_count:     31
    .vgpr_spill_count: 0
    .wavefront_size: 64
  - .agpr_count:     0
    .args:
      - .offset:         0
        .size:           32
        .value_kind:     by_value
      - .offset:         32
        .size:           4
        .value_kind:     hidden_block_count_x
      - .offset:         36
        .size:           4
        .value_kind:     hidden_block_count_y
      - .offset:         40
        .size:           4
        .value_kind:     hidden_block_count_z
      - .offset:         44
        .size:           2
        .value_kind:     hidden_group_size_x
      - .offset:         46
        .size:           2
        .value_kind:     hidden_group_size_y
      - .offset:         48
        .size:           2
        .value_kind:     hidden_group_size_z
      - .offset:         50
        .size:           2
        .value_kind:     hidden_remainder_x
      - .offset:         52
        .size:           2
        .value_kind:     hidden_remainder_y
      - .offset:         54
        .size:           2
        .value_kind:     hidden_remainder_z
      - .offset:         72
        .size:           8
        .value_kind:     hidden_global_offset_x
      - .offset:         80
        .size:           8
        .value_kind:     hidden_global_offset_y
      - .offset:         88
        .size:           8
        .value_kind:     hidden_global_offset_z
      - .offset:         96
        .size:           2
        .value_kind:     hidden_grid_dims
    .group_segment_fixed_size: 0
    .kernarg_segment_align: 8
    .kernarg_segment_size: 288
    .language:       OpenCL C
    .language_version:
      - 2
      - 0
    .max_flat_workgroup_size: 1024
    .name:           _ZN5aiter22opus_moe_sorting_entryINS_30MoeSortingClearWorkspaceKernelINS_31MoeSortingClearWorkspaceProblemILb1ELi1024ELi1EEEEENS4_5KargsEEEvT0_
    .private_segment_fixed_size: 0
    .sgpr_count:     13
    .sgpr_spill_count: 0
    .symbol:         _ZN5aiter22opus_moe_sorting_entryINS_30MoeSortingClearWorkspaceKernelINS_31MoeSortingClearWorkspaceProblemILb1ELi1024ELi1EEEEENS4_5KargsEEEvT0_.kd
    .uniform_work_group_size: 1
    .uses_dynamic_stack: false
    .vgpr_count:     10
    .vgpr_spill_count: 0
    .wavefront_size: 64
  - .agpr_count:     0
    .args:
      - .offset:         0
        .size:           32
        .value_kind:     by_value
      - .offset:         32
        .size:           4
        .value_kind:     hidden_block_count_x
      - .offset:         36
        .size:           4
        .value_kind:     hidden_block_count_y
      - .offset:         40
        .size:           4
        .value_kind:     hidden_block_count_z
      - .offset:         44
        .size:           2
        .value_kind:     hidden_group_size_x
      - .offset:         46
        .size:           2
        .value_kind:     hidden_group_size_y
      - .offset:         48
        .size:           2
        .value_kind:     hidden_group_size_z
      - .offset:         50
        .size:           2
        .value_kind:     hidden_remainder_x
      - .offset:         52
        .size:           2
        .value_kind:     hidden_remainder_y
      - .offset:         54
        .size:           2
        .value_kind:     hidden_remainder_z
      - .offset:         72
        .size:           8
        .value_kind:     hidden_global_offset_x
      - .offset:         80
        .size:           8
        .value_kind:     hidden_global_offset_y
      - .offset:         88
        .size:           8
        .value_kind:     hidden_global_offset_z
      - .offset:         96
        .size:           2
        .value_kind:     hidden_grid_dims
    .group_segment_fixed_size: 0
    .kernarg_segment_align: 8
    .kernarg_segment_size: 288
    .language:       OpenCL C
    .language_version:
      - 2
      - 0
    .max_flat_workgroup_size: 1024
    .name:           _ZN5aiter22opus_moe_sorting_entryINS_30MoeSortingClearWorkspaceKernelINS_31MoeSortingClearWorkspaceProblemILb0ELi1024ELi1EEEEENS4_5KargsEEEvT0_
    .private_segment_fixed_size: 0
    .sgpr_count:     12
    .sgpr_spill_count: 0
    .symbol:         _ZN5aiter22opus_moe_sorting_entryINS_30MoeSortingClearWorkspaceKernelINS_31MoeSortingClearWorkspaceProblemILb0ELi1024ELi1EEEEENS4_5KargsEEEvT0_.kd
    .uniform_work_group_size: 1
    .uses_dynamic_stack: false
    .vgpr_count:     10
    .vgpr_spill_count: 0
    .wavefront_size: 64
  - .agpr_count:     0
    .args:
      - .offset:         0
        .size:           72
        .value_kind:     by_value
    .group_segment_fixed_size: 32
    .kernarg_segment_align: 8
    .kernarg_segment_size: 72
    .language:       OpenCL C
    .language_version:
      - 2
      - 0
    .max_flat_workgroup_size: 1024
    .name:           _ZN5aiter22opus_moe_sorting_entryINS_32MoeSortingMultiPhaseKernel_P0_v2INS_19MoeSortingProblemMpIifhLi4ELb1ELb1ELb1EEEEENS4_5KargsEEEvT0_
    .private_segment_fixed_size: 0
    .sgpr_count:     44
    .sgpr_spill_count: 0
    .symbol:         _ZN5aiter22opus_moe_sorting_entryINS_32MoeSortingMultiPhaseKernel_P0_v2INS_19MoeSortingProblemMpIifhLi4ELb1ELb1ELb1EEEEENS4_5KargsEEEvT0_.kd
    .uniform_work_group_size: 1
    .uses_dynamic_stack: false
    .vgpr_count:     32
    .vgpr_spill_count: 0
    .wavefront_size: 64
  - .agpr_count:     0
    .args:
      - .offset:         0
        .size:           144
        .value_kind:     by_value
      - .offset:         144
        .size:           4
        .value_kind:     hidden_block_count_x
      - .offset:         148
        .size:           4
        .value_kind:     hidden_block_count_y
      - .offset:         152
        .size:           4
        .value_kind:     hidden_block_count_z
      - .offset:         156
        .size:           2
        .value_kind:     hidden_group_size_x
      - .offset:         158
        .size:           2
        .value_kind:     hidden_group_size_y
      - .offset:         160
        .size:           2
        .value_kind:     hidden_group_size_z
      - .offset:         162
        .size:           2
        .value_kind:     hidden_remainder_x
      - .offset:         164
        .size:           2
        .value_kind:     hidden_remainder_y
      - .offset:         166
        .size:           2
        .value_kind:     hidden_remainder_z
      - .offset:         184
        .size:           8
        .value_kind:     hidden_global_offset_x
      - .offset:         192
        .size:           8
        .value_kind:     hidden_global_offset_y
      - .offset:         200
        .size:           8
        .value_kind:     hidden_global_offset_z
      - .offset:         208
        .size:           2
        .value_kind:     hidden_grid_dims
      - .offset:         264
        .size:           4
        .value_kind:     hidden_dynamic_lds_size
    .group_segment_fixed_size: 0
    .kernarg_segment_align: 8
    .kernarg_segment_size: 400
    .language:       OpenCL C
    .language_version:
      - 2
      - 0
    .max_flat_workgroup_size: 1024
    .name:           _ZN5aiter22opus_moe_sorting_entryINS_30MoeSortingMultiPhaseKernel_P23INS_19MoeSortingProblemMpIifhLi16ELb1ELb1ELb1EEEEENS4_5KargsEEEvT0_
    .private_segment_fixed_size: 0
    .sgpr_count:     69
    .sgpr_spill_count: 0
    .symbol:         _ZN5aiter22opus_moe_sorting_entryINS_30MoeSortingMultiPhaseKernel_P23INS_19MoeSortingProblemMpIifhLi16ELb1ELb1ELb1EEEEENS4_5KargsEEEvT0_.kd
    .uniform_work_group_size: 1
    .uses_dynamic_stack: false
    .vgpr_count:     63
    .vgpr_spill_count: 0
    .wavefront_size: 64
  - .agpr_count:     0
    .args:
      - .offset:         0
        .size:           72
        .value_kind:     by_value
    .group_segment_fixed_size: 32
    .kernarg_segment_align: 8
    .kernarg_segment_size: 72
    .language:       OpenCL C
    .language_version:
      - 2
      - 0
    .max_flat_workgroup_size: 1024
    .name:           _ZN5aiter22opus_moe_sorting_entryINS_32MoeSortingMultiPhaseKernel_P0_v2INS_19MoeSortingProblemMpIifhLi4ELb1ELb0ELb1EEEEENS4_5KargsEEEvT0_
    .private_segment_fixed_size: 0
    .sgpr_count:     40
    .sgpr_spill_count: 0
    .symbol:         _ZN5aiter22opus_moe_sorting_entryINS_32MoeSortingMultiPhaseKernel_P0_v2INS_19MoeSortingProblemMpIifhLi4ELb1ELb0ELb1EEEEENS4_5KargsEEEvT0_.kd
    .uniform_work_group_size: 1
    .uses_dynamic_stack: false
    .vgpr_count:     32
    .vgpr_spill_count: 0
    .wavefront_size: 64
  - .agpr_count:     0
    .args:
      - .offset:         0
        .size:           144
        .value_kind:     by_value
      - .offset:         144
        .size:           4
        .value_kind:     hidden_block_count_x
      - .offset:         148
        .size:           4
        .value_kind:     hidden_block_count_y
      - .offset:         152
        .size:           4
        .value_kind:     hidden_block_count_z
      - .offset:         156
        .size:           2
        .value_kind:     hidden_group_size_x
      - .offset:         158
        .size:           2
        .value_kind:     hidden_group_size_y
      - .offset:         160
        .size:           2
        .value_kind:     hidden_group_size_z
      - .offset:         162
        .size:           2
        .value_kind:     hidden_remainder_x
      - .offset:         164
        .size:           2
        .value_kind:     hidden_remainder_y
      - .offset:         166
        .size:           2
        .value_kind:     hidden_remainder_z
      - .offset:         184
        .size:           8
        .value_kind:     hidden_global_offset_x
      - .offset:         192
        .size:           8
        .value_kind:     hidden_global_offset_y
      - .offset:         200
        .size:           8
        .value_kind:     hidden_global_offset_z
      - .offset:         208
        .size:           2
        .value_kind:     hidden_grid_dims
      - .offset:         264
        .size:           4
        .value_kind:     hidden_dynamic_lds_size
    .group_segment_fixed_size: 0
    .kernarg_segment_align: 8
    .kernarg_segment_size: 400
    .language:       OpenCL C
    .language_version:
      - 2
      - 0
    .max_flat_workgroup_size: 1024
    .name:           _ZN5aiter22opus_moe_sorting_entryINS_30MoeSortingMultiPhaseKernel_P23INS_19MoeSortingProblemMpIifhLi16ELb1ELb0ELb1EEEEENS4_5KargsEEEvT0_
    .private_segment_fixed_size: 0
    .sgpr_count:     69
    .sgpr_spill_count: 0
    .symbol:         _ZN5aiter22opus_moe_sorting_entryINS_30MoeSortingMultiPhaseKernel_P23INS_19MoeSortingProblemMpIifhLi16ELb1ELb0ELb1EEEEENS4_5KargsEEEvT0_.kd
    .uniform_work_group_size: 1
    .uses_dynamic_stack: false
    .vgpr_count:     63
    .vgpr_spill_count: 0
    .wavefront_size: 64
  - .agpr_count:     0
    .args:
      - .offset:         0
        .size:           72
        .value_kind:     by_value
    .group_segment_fixed_size: 32
    .kernarg_segment_align: 8
    .kernarg_segment_size: 72
    .language:       OpenCL C
    .language_version:
      - 2
      - 0
    .max_flat_workgroup_size: 1024
    .name:           _ZN5aiter22opus_moe_sorting_entryINS_32MoeSortingMultiPhaseKernel_P0_v2INS_19MoeSortingProblemMpIifhLi4ELb0ELb1ELb1EEEEENS4_5KargsEEEvT0_
    .private_segment_fixed_size: 0
    .sgpr_count:     40
    .sgpr_spill_count: 0
    .symbol:         _ZN5aiter22opus_moe_sorting_entryINS_32MoeSortingMultiPhaseKernel_P0_v2INS_19MoeSortingProblemMpIifhLi4ELb0ELb1ELb1EEEEENS4_5KargsEEEvT0_.kd
    .uniform_work_group_size: 1
    .uses_dynamic_stack: false
    .vgpr_count:     32
    .vgpr_spill_count: 0
    .wavefront_size: 64
  - .agpr_count:     0
    .args:
      - .offset:         0
        .size:           144
        .value_kind:     by_value
      - .offset:         144
        .size:           4
        .value_kind:     hidden_block_count_x
      - .offset:         148
        .size:           4
        .value_kind:     hidden_block_count_y
      - .offset:         152
        .size:           4
        .value_kind:     hidden_block_count_z
      - .offset:         156
        .size:           2
        .value_kind:     hidden_group_size_x
      - .offset:         158
        .size:           2
        .value_kind:     hidden_group_size_y
      - .offset:         160
        .size:           2
        .value_kind:     hidden_group_size_z
      - .offset:         162
        .size:           2
        .value_kind:     hidden_remainder_x
      - .offset:         164
        .size:           2
        .value_kind:     hidden_remainder_y
      - .offset:         166
        .size:           2
        .value_kind:     hidden_remainder_z
      - .offset:         184
        .size:           8
        .value_kind:     hidden_global_offset_x
      - .offset:         192
        .size:           8
        .value_kind:     hidden_global_offset_y
      - .offset:         200
        .size:           8
        .value_kind:     hidden_global_offset_z
      - .offset:         208
        .size:           2
        .value_kind:     hidden_grid_dims
      - .offset:         264
        .size:           4
        .value_kind:     hidden_dynamic_lds_size
    .group_segment_fixed_size: 0
    .kernarg_segment_align: 8
    .kernarg_segment_size: 400
    .language:       OpenCL C
    .language_version:
      - 2
      - 0
    .max_flat_workgroup_size: 1024
    .name:           _ZN5aiter22opus_moe_sorting_entryINS_30MoeSortingMultiPhaseKernel_P23INS_19MoeSortingProblemMpIifhLi16ELb0ELb1ELb1EEEEENS4_5KargsEEEvT0_
    .private_segment_fixed_size: 0
    .sgpr_count:     69
    .sgpr_spill_count: 0
    .symbol:         _ZN5aiter22opus_moe_sorting_entryINS_30MoeSortingMultiPhaseKernel_P23INS_19MoeSortingProblemMpIifhLi16ELb0ELb1ELb1EEEEENS4_5KargsEEEvT0_.kd
    .uniform_work_group_size: 1
    .uses_dynamic_stack: false
    .vgpr_count:     63
    .vgpr_spill_count: 0
    .wavefront_size: 64
  - .agpr_count:     0
    .args:
      - .offset:         0
        .size:           72
        .value_kind:     by_value
    .group_segment_fixed_size: 32
    .kernarg_segment_align: 8
    .kernarg_segment_size: 72
    .language:       OpenCL C
    .language_version:
      - 2
      - 0
    .max_flat_workgroup_size: 1024
    .name:           _ZN5aiter22opus_moe_sorting_entryINS_32MoeSortingMultiPhaseKernel_P0_v2INS_19MoeSortingProblemMpIifhLi4ELb0ELb0ELb1EEEEENS4_5KargsEEEvT0_
    .private_segment_fixed_size: 0
    .sgpr_count:     40
    .sgpr_spill_count: 0
    .symbol:         _ZN5aiter22opus_moe_sorting_entryINS_32MoeSortingMultiPhaseKernel_P0_v2INS_19MoeSortingProblemMpIifhLi4ELb0ELb0ELb1EEEEENS4_5KargsEEEvT0_.kd
    .uniform_work_group_size: 1
    .uses_dynamic_stack: false
    .vgpr_count:     32
    .vgpr_spill_count: 0
    .wavefront_size: 64
  - .agpr_count:     0
    .args:
      - .offset:         0
        .size:           144
        .value_kind:     by_value
      - .offset:         144
        .size:           4
        .value_kind:     hidden_block_count_x
      - .offset:         148
        .size:           4
        .value_kind:     hidden_block_count_y
      - .offset:         152
        .size:           4
        .value_kind:     hidden_block_count_z
      - .offset:         156
        .size:           2
        .value_kind:     hidden_group_size_x
      - .offset:         158
        .size:           2
        .value_kind:     hidden_group_size_y
      - .offset:         160
        .size:           2
        .value_kind:     hidden_group_size_z
      - .offset:         162
        .size:           2
        .value_kind:     hidden_remainder_x
      - .offset:         164
        .size:           2
        .value_kind:     hidden_remainder_y
      - .offset:         166
        .size:           2
        .value_kind:     hidden_remainder_z
      - .offset:         184
        .size:           8
        .value_kind:     hidden_global_offset_x
      - .offset:         192
        .size:           8
        .value_kind:     hidden_global_offset_y
      - .offset:         200
        .size:           8
        .value_kind:     hidden_global_offset_z
      - .offset:         208
        .size:           2
        .value_kind:     hidden_grid_dims
      - .offset:         264
        .size:           4
        .value_kind:     hidden_dynamic_lds_size
    .group_segment_fixed_size: 0
    .kernarg_segment_align: 8
    .kernarg_segment_size: 400
    .language:       OpenCL C
    .language_version:
      - 2
      - 0
    .max_flat_workgroup_size: 1024
    .name:           _ZN5aiter22opus_moe_sorting_entryINS_30MoeSortingMultiPhaseKernel_P23INS_19MoeSortingProblemMpIifhLi16ELb0ELb0ELb1EEEEENS4_5KargsEEEvT0_
    .private_segment_fixed_size: 0
    .sgpr_count:     69
    .sgpr_spill_count: 0
    .symbol:         _ZN5aiter22opus_moe_sorting_entryINS_30MoeSortingMultiPhaseKernel_P23INS_19MoeSortingProblemMpIifhLi16ELb0ELb0ELb1EEEEENS4_5KargsEEEvT0_.kd
    .uniform_work_group_size: 1
    .uses_dynamic_stack: false
    .vgpr_count:     63
    .vgpr_spill_count: 0
    .wavefront_size: 64
  - .agpr_count:     0
    .args:
      - .offset:         0
        .size:           72
        .value_kind:     by_value
    .group_segment_fixed_size: 32
    .kernarg_segment_align: 8
    .kernarg_segment_size: 72
    .language:       OpenCL C
    .language_version:
      - 2
      - 0
    .max_flat_workgroup_size: 1024
    .name:           _ZN5aiter22opus_moe_sorting_entryINS_32MoeSortingMultiPhaseKernel_P0_v2INS_19MoeSortingProblemMpIifhLi1ELb1ELb1ELb1EEEEENS4_5KargsEEEvT0_
    .private_segment_fixed_size: 0
    .sgpr_count:     28
    .sgpr_spill_count: 0
    .symbol:         _ZN5aiter22opus_moe_sorting_entryINS_32MoeSortingMultiPhaseKernel_P0_v2INS_19MoeSortingProblemMpIifhLi1ELb1ELb1ELb1EEEEENS4_5KargsEEEvT0_.kd
    .uniform_work_group_size: 1
    .uses_dynamic_stack: false
    .vgpr_count:     32
    .vgpr_spill_count: 0
    .wavefront_size: 64
  - .agpr_count:     0
    .args:
      - .offset:         0
        .size:           72
        .value_kind:     by_value
    .group_segment_fixed_size: 32
    .kernarg_segment_align: 8
    .kernarg_segment_size: 72
    .language:       OpenCL C
    .language_version:
      - 2
      - 0
    .max_flat_workgroup_size: 1024
    .name:           _ZN5aiter22opus_moe_sorting_entryINS_32MoeSortingMultiPhaseKernel_P0_v2INS_19MoeSortingProblemMpIifhLi1ELb1ELb0ELb1EEEEENS4_5KargsEEEvT0_
    .private_segment_fixed_size: 0
    .sgpr_count:     24
    .sgpr_spill_count: 0
    .symbol:         _ZN5aiter22opus_moe_sorting_entryINS_32MoeSortingMultiPhaseKernel_P0_v2INS_19MoeSortingProblemMpIifhLi1ELb1ELb0ELb1EEEEENS4_5KargsEEEvT0_.kd
    .uniform_work_group_size: 1
    .uses_dynamic_stack: false
    .vgpr_count:     32
    .vgpr_spill_count: 0
    .wavefront_size: 64
  - .agpr_count:     0
    .args:
      - .offset:         0
        .size:           72
        .value_kind:     by_value
    .group_segment_fixed_size: 32
    .kernarg_segment_align: 8
    .kernarg_segment_size: 72
    .language:       OpenCL C
    .language_version:
      - 2
      - 0
    .max_flat_workgroup_size: 1024
    .name:           _ZN5aiter22opus_moe_sorting_entryINS_32MoeSortingMultiPhaseKernel_P0_v2INS_19MoeSortingProblemMpIifhLi1ELb0ELb1ELb1EEEEENS4_5KargsEEEvT0_
    .private_segment_fixed_size: 0
    .sgpr_count:     26
    .sgpr_spill_count: 0
    .symbol:         _ZN5aiter22opus_moe_sorting_entryINS_32MoeSortingMultiPhaseKernel_P0_v2INS_19MoeSortingProblemMpIifhLi1ELb0ELb1ELb1EEEEENS4_5KargsEEEvT0_.kd
    .uniform_work_group_size: 1
    .uses_dynamic_stack: false
    .vgpr_count:     32
    .vgpr_spill_count: 0
    .wavefront_size: 64
  - .agpr_count:     0
    .args:
      - .offset:         0
        .size:           72
        .value_kind:     by_value
    .group_segment_fixed_size: 32
    .kernarg_segment_align: 8
    .kernarg_segment_size: 72
    .language:       OpenCL C
    .language_version:
      - 2
      - 0
    .max_flat_workgroup_size: 1024
    .name:           _ZN5aiter22opus_moe_sorting_entryINS_32MoeSortingMultiPhaseKernel_P0_v2INS_19MoeSortingProblemMpIifhLi1ELb0ELb0ELb1EEEEENS4_5KargsEEEvT0_
    .private_segment_fixed_size: 0
    .sgpr_count:     24
    .sgpr_spill_count: 0
    .symbol:         _ZN5aiter22opus_moe_sorting_entryINS_32MoeSortingMultiPhaseKernel_P0_v2INS_19MoeSortingProblemMpIifhLi1ELb0ELb0ELb1EEEEENS4_5KargsEEEvT0_.kd
    .uniform_work_group_size: 1
    .uses_dynamic_stack: false
    .vgpr_count:     32
    .vgpr_spill_count: 0
    .wavefront_size: 64
  - .agpr_count:     0
    .args:
      - .offset:         0
        .size:           72
        .value_kind:     by_value
    .group_segment_fixed_size: 32
    .kernarg_segment_align: 8
    .kernarg_segment_size: 72
    .language:       OpenCL C
    .language_version:
      - 2
      - 0
    .max_flat_workgroup_size: 1024
    .name:           _ZN5aiter22opus_moe_sorting_entryINS_32MoeSortingMultiPhaseKernel_P0_v2INS_19MoeSortingProblemMpIifiLi1ELb1ELb1ELb1EEEEENS4_5KargsEEEvT0_
    .private_segment_fixed_size: 0
    .sgpr_count:     31
    .sgpr_spill_count: 0
    .symbol:         _ZN5aiter22opus_moe_sorting_entryINS_32MoeSortingMultiPhaseKernel_P0_v2INS_19MoeSortingProblemMpIifiLi1ELb1ELb1ELb1EEEEENS4_5KargsEEEvT0_.kd
    .uniform_work_group_size: 1
    .uses_dynamic_stack: false
    .vgpr_count:     18
    .vgpr_spill_count: 0
    .wavefront_size: 64
  - .agpr_count:     0
    .args:
      - .offset:         0
        .size:           144
        .value_kind:     by_value
      - .offset:         144
        .size:           4
        .value_kind:     hidden_block_count_x
      - .offset:         148
        .size:           4
        .value_kind:     hidden_block_count_y
      - .offset:         152
        .size:           4
        .value_kind:     hidden_block_count_z
      - .offset:         156
        .size:           2
        .value_kind:     hidden_group_size_x
      - .offset:         158
        .size:           2
        .value_kind:     hidden_group_size_y
      - .offset:         160
        .size:           2
        .value_kind:     hidden_group_size_z
      - .offset:         162
        .size:           2
        .value_kind:     hidden_remainder_x
      - .offset:         164
        .size:           2
        .value_kind:     hidden_remainder_y
      - .offset:         166
        .size:           2
        .value_kind:     hidden_remainder_z
      - .offset:         184
        .size:           8
        .value_kind:     hidden_global_offset_x
      - .offset:         192
        .size:           8
        .value_kind:     hidden_global_offset_y
      - .offset:         200
        .size:           8
        .value_kind:     hidden_global_offset_z
      - .offset:         208
        .size:           2
        .value_kind:     hidden_grid_dims
      - .offset:         264
        .size:           4
        .value_kind:     hidden_dynamic_lds_size
    .group_segment_fixed_size: 0
    .kernarg_segment_align: 8
    .kernarg_segment_size: 400
    .language:       OpenCL C
    .language_version:
      - 2
      - 0
    .max_flat_workgroup_size: 1024
    .name:           _ZN5aiter22opus_moe_sorting_entryINS_30MoeSortingMultiPhaseKernel_P23INS_19MoeSortingProblemMpIifiLi1ELb1ELb1ELb1EEEEENS4_5KargsEEEvT0_
    .private_segment_fixed_size: 0
    .sgpr_count:     65
    .sgpr_spill_count: 0
    .symbol:         _ZN5aiter22opus_moe_sorting_entryINS_30MoeSortingMultiPhaseKernel_P23INS_19MoeSortingProblemMpIifiLi1ELb1ELb1ELb1EEEEENS4_5KargsEEEvT0_.kd
    .uniform_work_group_size: 1
    .uses_dynamic_stack: false
    .vgpr_count:     29
    .vgpr_spill_count: 0
    .wavefront_size: 64
  - .agpr_count:     0
    .args:
      - .offset:         0
        .size:           72
        .value_kind:     by_value
    .group_segment_fixed_size: 32
    .kernarg_segment_align: 8
    .kernarg_segment_size: 72
    .language:       OpenCL C
    .language_version:
      - 2
      - 0
    .max_flat_workgroup_size: 1024
    .name:           _ZN5aiter22opus_moe_sorting_entryINS_32MoeSortingMultiPhaseKernel_P0_v2INS_19MoeSortingProblemMpIifiLi1ELb1ELb0ELb1EEEEENS4_5KargsEEEvT0_
    .private_segment_fixed_size: 0
    .sgpr_count:     26
    .sgpr_spill_count: 0
    .symbol:         _ZN5aiter22opus_moe_sorting_entryINS_32MoeSortingMultiPhaseKernel_P0_v2INS_19MoeSortingProblemMpIifiLi1ELb1ELb0ELb1EEEEENS4_5KargsEEEvT0_.kd
    .uniform_work_group_size: 1
    .uses_dynamic_stack: false
    .vgpr_count:     18
    .vgpr_spill_count: 0
    .wavefront_size: 64
  - .agpr_count:     0
    .args:
      - .offset:         0
        .size:           144
        .value_kind:     by_value
      - .offset:         144
        .size:           4
        .value_kind:     hidden_block_count_x
      - .offset:         148
        .size:           4
        .value_kind:     hidden_block_count_y
      - .offset:         152
        .size:           4
        .value_kind:     hidden_block_count_z
      - .offset:         156
        .size:           2
        .value_kind:     hidden_group_size_x
      - .offset:         158
        .size:           2
        .value_kind:     hidden_group_size_y
      - .offset:         160
        .size:           2
        .value_kind:     hidden_group_size_z
      - .offset:         162
        .size:           2
        .value_kind:     hidden_remainder_x
      - .offset:         164
        .size:           2
        .value_kind:     hidden_remainder_y
      - .offset:         166
        .size:           2
        .value_kind:     hidden_remainder_z
      - .offset:         184
        .size:           8
        .value_kind:     hidden_global_offset_x
      - .offset:         192
        .size:           8
        .value_kind:     hidden_global_offset_y
      - .offset:         200
        .size:           8
        .value_kind:     hidden_global_offset_z
      - .offset:         208
        .size:           2
        .value_kind:     hidden_grid_dims
      - .offset:         264
        .size:           4
        .value_kind:     hidden_dynamic_lds_size
    .group_segment_fixed_size: 0
    .kernarg_segment_align: 8
    .kernarg_segment_size: 400
    .language:       OpenCL C
    .language_version:
      - 2
      - 0
    .max_flat_workgroup_size: 1024
    .name:           _ZN5aiter22opus_moe_sorting_entryINS_30MoeSortingMultiPhaseKernel_P23INS_19MoeSortingProblemMpIifiLi1ELb1ELb0ELb1EEEEENS4_5KargsEEEvT0_
    .private_segment_fixed_size: 0
    .sgpr_count:     66
    .sgpr_spill_count: 0
    .symbol:         _ZN5aiter22opus_moe_sorting_entryINS_30MoeSortingMultiPhaseKernel_P23INS_19MoeSortingProblemMpIifiLi1ELb1ELb0ELb1EEEEENS4_5KargsEEEvT0_.kd
    .uniform_work_group_size: 1
    .uses_dynamic_stack: false
    .vgpr_count:     29
    .vgpr_spill_count: 0
    .wavefront_size: 64
  - .agpr_count:     0
    .args:
      - .offset:         0
        .size:           72
        .value_kind:     by_value
    .group_segment_fixed_size: 32
    .kernarg_segment_align: 8
    .kernarg_segment_size: 72
    .language:       OpenCL C
    .language_version:
      - 2
      - 0
    .max_flat_workgroup_size: 1024
    .name:           _ZN5aiter22opus_moe_sorting_entryINS_32MoeSortingMultiPhaseKernel_P0_v2INS_19MoeSortingProblemMpIifiLi1ELb0ELb1ELb1EEEEENS4_5KargsEEEvT0_
    .private_segment_fixed_size: 0
    .sgpr_count:     28
    .sgpr_spill_count: 0
    .symbol:         _ZN5aiter22opus_moe_sorting_entryINS_32MoeSortingMultiPhaseKernel_P0_v2INS_19MoeSortingProblemMpIifiLi1ELb0ELb1ELb1EEEEENS4_5KargsEEEvT0_.kd
    .uniform_work_group_size: 1
    .uses_dynamic_stack: false
    .vgpr_count:     18
    .vgpr_spill_count: 0
    .wavefront_size: 64
  - .agpr_count:     0
    .args:
      - .offset:         0
        .size:           144
        .value_kind:     by_value
      - .offset:         144
        .size:           4
        .value_kind:     hidden_block_count_x
      - .offset:         148
        .size:           4
        .value_kind:     hidden_block_count_y
      - .offset:         152
        .size:           4
        .value_kind:     hidden_block_count_z
      - .offset:         156
        .size:           2
        .value_kind:     hidden_group_size_x
      - .offset:         158
        .size:           2
        .value_kind:     hidden_group_size_y
      - .offset:         160
        .size:           2
        .value_kind:     hidden_group_size_z
      - .offset:         162
        .size:           2
        .value_kind:     hidden_remainder_x
      - .offset:         164
        .size:           2
        .value_kind:     hidden_remainder_y
      - .offset:         166
        .size:           2
        .value_kind:     hidden_remainder_z
      - .offset:         184
        .size:           8
        .value_kind:     hidden_global_offset_x
      - .offset:         192
        .size:           8
        .value_kind:     hidden_global_offset_y
      - .offset:         200
        .size:           8
        .value_kind:     hidden_global_offset_z
      - .offset:         208
        .size:           2
        .value_kind:     hidden_grid_dims
      - .offset:         264
        .size:           4
        .value_kind:     hidden_dynamic_lds_size
    .group_segment_fixed_size: 0
    .kernarg_segment_align: 8
    .kernarg_segment_size: 400
    .language:       OpenCL C
    .language_version:
      - 2
      - 0
    .max_flat_workgroup_size: 1024
    .name:           _ZN5aiter22opus_moe_sorting_entryINS_30MoeSortingMultiPhaseKernel_P23INS_19MoeSortingProblemMpIifiLi1ELb0ELb1ELb1EEEEENS4_5KargsEEEvT0_
    .private_segment_fixed_size: 0
    .sgpr_count:     61
    .sgpr_spill_count: 0
    .symbol:         _ZN5aiter22opus_moe_sorting_entryINS_30MoeSortingMultiPhaseKernel_P23INS_19MoeSortingProblemMpIifiLi1ELb0ELb1ELb1EEEEENS4_5KargsEEEvT0_.kd
    .uniform_work_group_size: 1
    .uses_dynamic_stack: false
    .vgpr_count:     30
    .vgpr_spill_count: 0
    .wavefront_size: 64
  - .agpr_count:     0
    .args:
      - .offset:         0
        .size:           72
        .value_kind:     by_value
    .group_segment_fixed_size: 32
    .kernarg_segment_align: 8
    .kernarg_segment_size: 72
    .language:       OpenCL C
    .language_version:
      - 2
      - 0
    .max_flat_workgroup_size: 1024
    .name:           _ZN5aiter22opus_moe_sorting_entryINS_32MoeSortingMultiPhaseKernel_P0_v2INS_19MoeSortingProblemMpIifiLi1ELb0ELb0ELb1EEEEENS4_5KargsEEEvT0_
    .private_segment_fixed_size: 0
    .sgpr_count:     26
    .sgpr_spill_count: 0
    .symbol:         _ZN5aiter22opus_moe_sorting_entryINS_32MoeSortingMultiPhaseKernel_P0_v2INS_19MoeSortingProblemMpIifiLi1ELb0ELb0ELb1EEEEENS4_5KargsEEEvT0_.kd
    .uniform_work_group_size: 1
    .uses_dynamic_stack: false
    .vgpr_count:     18
    .vgpr_spill_count: 0
    .wavefront_size: 64
  - .agpr_count:     0
    .args:
      - .offset:         0
        .size:           144
        .value_kind:     by_value
      - .offset:         144
        .size:           4
        .value_kind:     hidden_block_count_x
      - .offset:         148
        .size:           4
        .value_kind:     hidden_block_count_y
      - .offset:         152
        .size:           4
        .value_kind:     hidden_block_count_z
      - .offset:         156
        .size:           2
        .value_kind:     hidden_group_size_x
      - .offset:         158
        .size:           2
        .value_kind:     hidden_group_size_y
      - .offset:         160
        .size:           2
        .value_kind:     hidden_group_size_z
      - .offset:         162
        .size:           2
        .value_kind:     hidden_remainder_x
      - .offset:         164
        .size:           2
        .value_kind:     hidden_remainder_y
      - .offset:         166
        .size:           2
        .value_kind:     hidden_remainder_z
      - .offset:         184
        .size:           8
        .value_kind:     hidden_global_offset_x
      - .offset:         192
        .size:           8
        .value_kind:     hidden_global_offset_y
      - .offset:         200
        .size:           8
        .value_kind:     hidden_global_offset_z
      - .offset:         208
        .size:           2
        .value_kind:     hidden_grid_dims
      - .offset:         264
        .size:           4
        .value_kind:     hidden_dynamic_lds_size
    .group_segment_fixed_size: 0
    .kernarg_segment_align: 8
    .kernarg_segment_size: 400
    .language:       OpenCL C
    .language_version:
      - 2
      - 0
    .max_flat_workgroup_size: 1024
    .name:           _ZN5aiter22opus_moe_sorting_entryINS_30MoeSortingMultiPhaseKernel_P23INS_19MoeSortingProblemMpIifiLi1ELb0ELb0ELb1EEEEENS4_5KargsEEEvT0_
    .private_segment_fixed_size: 0
    .sgpr_count:     62
    .sgpr_spill_count: 0
    .symbol:         _ZN5aiter22opus_moe_sorting_entryINS_30MoeSortingMultiPhaseKernel_P23INS_19MoeSortingProblemMpIifiLi1ELb0ELb0ELb1EEEEENS4_5KargsEEEvT0_.kd
    .uniform_work_group_size: 1
    .uses_dynamic_stack: false
    .vgpr_count:     30
    .vgpr_spill_count: 0
    .wavefront_size: 64
  - .agpr_count:     0
    .args:
      - .offset:         0
        .size:           48
        .value_kind:     by_value
      - .offset:         48
        .size:           4
        .value_kind:     hidden_block_count_x
      - .offset:         52
        .size:           4
        .value_kind:     hidden_block_count_y
      - .offset:         56
        .size:           4
        .value_kind:     hidden_block_count_z
      - .offset:         60
        .size:           2
        .value_kind:     hidden_group_size_x
      - .offset:         62
        .size:           2
        .value_kind:     hidden_group_size_y
      - .offset:         64
        .size:           2
        .value_kind:     hidden_group_size_z
      - .offset:         66
        .size:           2
        .value_kind:     hidden_remainder_x
      - .offset:         68
        .size:           2
        .value_kind:     hidden_remainder_y
      - .offset:         70
        .size:           2
        .value_kind:     hidden_remainder_z
      - .offset:         88
        .size:           8
        .value_kind:     hidden_global_offset_x
      - .offset:         96
        .size:           8
        .value_kind:     hidden_global_offset_y
      - .offset:         104
        .size:           8
        .value_kind:     hidden_global_offset_z
      - .offset:         112
        .size:           2
        .value_kind:     hidden_grid_dims
    .group_segment_fixed_size: 0
    .kernarg_segment_align: 8
    .kernarg_segment_size: 304
    .language:       OpenCL C
    .language_version:
      - 2
      - 0
    .max_flat_workgroup_size: 1024
    .name:           _ZN5aiter22opus_moe_sorting_entryINS_32MoeSortingMultiPhaseKernel_P0_v1INS_19MoeSortingProblemMpIifhLi4ELb1ELb1ELb1EEEEENS4_5KargsEEEvT0_
    .private_segment_fixed_size: 0
    .sgpr_count:     46
    .sgpr_spill_count: 0
    .symbol:         _ZN5aiter22opus_moe_sorting_entryINS_32MoeSortingMultiPhaseKernel_P0_v1INS_19MoeSortingProblemMpIifhLi4ELb1ELb1ELb1EEEEENS4_5KargsEEEvT0_.kd
    .uniform_work_group_size: 1
    .uses_dynamic_stack: false
    .vgpr_count:     36
    .vgpr_spill_count: 0
    .wavefront_size: 64
  - .agpr_count:     0
    .args:
      - .offset:         0
        .size:           40
        .value_kind:     by_value
    .group_segment_fixed_size: 16
    .kernarg_segment_align: 8
    .kernarg_segment_size: 40
    .language:       OpenCL C
    .language_version:
      - 2
      - 0
    .max_flat_workgroup_size: 1024
    .name:           _ZN5aiter22opus_moe_sorting_entryINS_29MoeSortingMultiPhaseKernel_P1INS_19MoeSortingProblemMpIifhLi16ELb1ELb1ELb1EEEEENS4_5KargsEEEvT0_
    .private_segment_fixed_size: 0
    .sgpr_count:     20
    .sgpr_spill_count: 0
    .symbol:         _ZN5aiter22opus_moe_sorting_entryINS_29MoeSortingMultiPhaseKernel_P1INS_19MoeSortingProblemMpIifhLi16ELb1ELb1ELb1EEEEENS4_5KargsEEEvT0_.kd
    .uniform_work_group_size: 1
    .uses_dynamic_stack: false
    .vgpr_count:     20
    .vgpr_spill_count: 0
    .wavefront_size: 64
  - .agpr_count:     0
    .args:
      - .offset:         0
        .size:           48
        .value_kind:     by_value
      - .offset:         48
        .size:           4
        .value_kind:     hidden_block_count_x
      - .offset:         52
        .size:           4
        .value_kind:     hidden_block_count_y
      - .offset:         56
        .size:           4
        .value_kind:     hidden_block_count_z
      - .offset:         60
        .size:           2
        .value_kind:     hidden_group_size_x
      - .offset:         62
        .size:           2
        .value_kind:     hidden_group_size_y
      - .offset:         64
        .size:           2
        .value_kind:     hidden_group_size_z
      - .offset:         66
        .size:           2
        .value_kind:     hidden_remainder_x
      - .offset:         68
        .size:           2
        .value_kind:     hidden_remainder_y
      - .offset:         70
        .size:           2
        .value_kind:     hidden_remainder_z
      - .offset:         88
        .size:           8
        .value_kind:     hidden_global_offset_x
      - .offset:         96
        .size:           8
        .value_kind:     hidden_global_offset_y
      - .offset:         104
        .size:           8
        .value_kind:     hidden_global_offset_z
      - .offset:         112
        .size:           2
        .value_kind:     hidden_grid_dims
    .group_segment_fixed_size: 0
    .kernarg_segment_align: 8
    .kernarg_segment_size: 304
    .language:       OpenCL C
    .language_version:
      - 2
      - 0
    .max_flat_workgroup_size: 1024
    .name:           _ZN5aiter22opus_moe_sorting_entryINS_32MoeSortingMultiPhaseKernel_P0_v1INS_19MoeSortingProblemMpIifhLi4ELb1ELb0ELb1EEEEENS4_5KargsEEEvT0_
    .private_segment_fixed_size: 0
    .sgpr_count:     44
    .sgpr_spill_count: 0
    .symbol:         _ZN5aiter22opus_moe_sorting_entryINS_32MoeSortingMultiPhaseKernel_P0_v1INS_19MoeSortingProblemMpIifhLi4ELb1ELb0ELb1EEEEENS4_5KargsEEEvT0_.kd
    .uniform_work_group_size: 1
    .uses_dynamic_stack: false
    .vgpr_count:     34
    .vgpr_spill_count: 0
    .wavefront_size: 64
  - .agpr_count:     0
    .args:
      - .offset:         0
        .size:           40
        .value_kind:     by_value
    .group_segment_fixed_size: 16
    .kernarg_segment_align: 8
    .kernarg_segment_size: 40
    .language:       OpenCL C
    .language_version:
      - 2
      - 0
    .max_flat_workgroup_size: 1024
    .name:           _ZN5aiter22opus_moe_sorting_entryINS_29MoeSortingMultiPhaseKernel_P1INS_19MoeSortingProblemMpIifhLi16ELb1ELb0ELb1EEEEENS4_5KargsEEEvT0_
    .private_segment_fixed_size: 0
    .sgpr_count:     16
    .sgpr_spill_count: 0
    .symbol:         _ZN5aiter22opus_moe_sorting_entryINS_29MoeSortingMultiPhaseKernel_P1INS_19MoeSortingProblemMpIifhLi16ELb1ELb0ELb1EEEEENS4_5KargsEEEvT0_.kd
    .uniform_work_group_size: 1
    .uses_dynamic_stack: false
    .vgpr_count:     20
    .vgpr_spill_count: 0
    .wavefront_size: 64
  - .agpr_count:     0
    .args:
      - .offset:         0
        .size:           48
        .value_kind:     by_value
      - .offset:         48
        .size:           4
        .value_kind:     hidden_block_count_x
      - .offset:         52
        .size:           4
        .value_kind:     hidden_block_count_y
      - .offset:         56
        .size:           4
        .value_kind:     hidden_block_count_z
      - .offset:         60
        .size:           2
        .value_kind:     hidden_group_size_x
      - .offset:         62
        .size:           2
        .value_kind:     hidden_group_size_y
      - .offset:         64
        .size:           2
        .value_kind:     hidden_group_size_z
      - .offset:         66
        .size:           2
        .value_kind:     hidden_remainder_x
      - .offset:         68
        .size:           2
        .value_kind:     hidden_remainder_y
      - .offset:         70
        .size:           2
        .value_kind:     hidden_remainder_z
      - .offset:         88
        .size:           8
        .value_kind:     hidden_global_offset_x
      - .offset:         96
        .size:           8
        .value_kind:     hidden_global_offset_y
      - .offset:         104
        .size:           8
        .value_kind:     hidden_global_offset_z
      - .offset:         112
        .size:           2
        .value_kind:     hidden_grid_dims
    .group_segment_fixed_size: 0
    .kernarg_segment_align: 8
    .kernarg_segment_size: 304
    .language:       OpenCL C
    .language_version:
      - 2
      - 0
    .max_flat_workgroup_size: 1024
    .name:           _ZN5aiter22opus_moe_sorting_entryINS_32MoeSortingMultiPhaseKernel_P0_v1INS_19MoeSortingProblemMpIifhLi4ELb0ELb1ELb1EEEEENS4_5KargsEEEvT0_
    .private_segment_fixed_size: 0
    .sgpr_count:     46
    .sgpr_spill_count: 0
    .symbol:         _ZN5aiter22opus_moe_sorting_entryINS_32MoeSortingMultiPhaseKernel_P0_v1INS_19MoeSortingProblemMpIifhLi4ELb0ELb1ELb1EEEEENS4_5KargsEEEvT0_.kd
    .uniform_work_group_size: 1
    .uses_dynamic_stack: false
    .vgpr_count:     36
    .vgpr_spill_count: 0
    .wavefront_size: 64
  - .agpr_count:     0
    .args:
      - .offset:         0
        .size:           40
        .value_kind:     by_value
    .group_segment_fixed_size: 16
    .kernarg_segment_align: 8
    .kernarg_segment_size: 40
    .language:       OpenCL C
    .language_version:
      - 2
      - 0
    .max_flat_workgroup_size: 1024
    .name:           _ZN5aiter22opus_moe_sorting_entryINS_29MoeSortingMultiPhaseKernel_P1INS_19MoeSortingProblemMpIifhLi16ELb0ELb1ELb1EEEEENS4_5KargsEEEvT0_
    .private_segment_fixed_size: 0
    .sgpr_count:     15
    .sgpr_spill_count: 0
    .symbol:         _ZN5aiter22opus_moe_sorting_entryINS_29MoeSortingMultiPhaseKernel_P1INS_19MoeSortingProblemMpIifhLi16ELb0ELb1ELb1EEEEENS4_5KargsEEEvT0_.kd
    .uniform_work_group_size: 1
    .uses_dynamic_stack: false
    .vgpr_count:     20
    .vgpr_spill_count: 0
    .wavefront_size: 64
  - .agpr_count:     0
    .args:
      - .offset:         0
        .size:           48
        .value_kind:     by_value
      - .offset:         48
        .size:           4
        .value_kind:     hidden_block_count_x
      - .offset:         52
        .size:           4
        .value_kind:     hidden_block_count_y
      - .offset:         56
        .size:           4
        .value_kind:     hidden_block_count_z
      - .offset:         60
        .size:           2
        .value_kind:     hidden_group_size_x
      - .offset:         62
        .size:           2
        .value_kind:     hidden_group_size_y
      - .offset:         64
        .size:           2
        .value_kind:     hidden_group_size_z
      - .offset:         66
        .size:           2
        .value_kind:     hidden_remainder_x
      - .offset:         68
        .size:           2
        .value_kind:     hidden_remainder_y
      - .offset:         70
        .size:           2
        .value_kind:     hidden_remainder_z
      - .offset:         88
        .size:           8
        .value_kind:     hidden_global_offset_x
      - .offset:         96
        .size:           8
        .value_kind:     hidden_global_offset_y
      - .offset:         104
        .size:           8
        .value_kind:     hidden_global_offset_z
      - .offset:         112
        .size:           2
        .value_kind:     hidden_grid_dims
    .group_segment_fixed_size: 0
    .kernarg_segment_align: 8
    .kernarg_segment_size: 304
    .language:       OpenCL C
    .language_version:
      - 2
      - 0
    .max_flat_workgroup_size: 1024
    .name:           _ZN5aiter22opus_moe_sorting_entryINS_32MoeSortingMultiPhaseKernel_P0_v1INS_19MoeSortingProblemMpIifhLi4ELb0ELb0ELb1EEEEENS4_5KargsEEEvT0_
    .private_segment_fixed_size: 0
    .sgpr_count:     44
    .sgpr_spill_count: 0
    .symbol:         _ZN5aiter22opus_moe_sorting_entryINS_32MoeSortingMultiPhaseKernel_P0_v1INS_19MoeSortingProblemMpIifhLi4ELb0ELb0ELb1EEEEENS4_5KargsEEEvT0_.kd
    .uniform_work_group_size: 1
    .uses_dynamic_stack: false
    .vgpr_count:     34
    .vgpr_spill_count: 0
    .wavefront_size: 64
  - .agpr_count:     0
    .args:
      - .offset:         0
        .size:           40
        .value_kind:     by_value
    .group_segment_fixed_size: 16
    .kernarg_segment_align: 8
    .kernarg_segment_size: 40
    .language:       OpenCL C
    .language_version:
      - 2
      - 0
    .max_flat_workgroup_size: 1024
    .name:           _ZN5aiter22opus_moe_sorting_entryINS_29MoeSortingMultiPhaseKernel_P1INS_19MoeSortingProblemMpIifhLi16ELb0ELb0ELb1EEEEENS4_5KargsEEEvT0_
    .private_segment_fixed_size: 0
    .sgpr_count:     15
    .sgpr_spill_count: 0
    .symbol:         _ZN5aiter22opus_moe_sorting_entryINS_29MoeSortingMultiPhaseKernel_P1INS_19MoeSortingProblemMpIifhLi16ELb0ELb0ELb1EEEEENS4_5KargsEEEvT0_.kd
    .uniform_work_group_size: 1
    .uses_dynamic_stack: false
    .vgpr_count:     20
    .vgpr_spill_count: 0
    .wavefront_size: 64
  - .agpr_count:     0
    .args:
      - .offset:         0
        .size:           48
        .value_kind:     by_value
      - .offset:         48
        .size:           4
        .value_kind:     hidden_block_count_x
      - .offset:         52
        .size:           4
        .value_kind:     hidden_block_count_y
      - .offset:         56
        .size:           4
        .value_kind:     hidden_block_count_z
      - .offset:         60
        .size:           2
        .value_kind:     hidden_group_size_x
      - .offset:         62
        .size:           2
        .value_kind:     hidden_group_size_y
      - .offset:         64
        .size:           2
        .value_kind:     hidden_group_size_z
      - .offset:         66
        .size:           2
        .value_kind:     hidden_remainder_x
      - .offset:         68
        .size:           2
        .value_kind:     hidden_remainder_y
      - .offset:         70
        .size:           2
        .value_kind:     hidden_remainder_z
      - .offset:         88
        .size:           8
        .value_kind:     hidden_global_offset_x
      - .offset:         96
        .size:           8
        .value_kind:     hidden_global_offset_y
      - .offset:         104
        .size:           8
        .value_kind:     hidden_global_offset_z
      - .offset:         112
        .size:           2
        .value_kind:     hidden_grid_dims
    .group_segment_fixed_size: 0
    .kernarg_segment_align: 8
    .kernarg_segment_size: 304
    .language:       OpenCL C
    .language_version:
      - 2
      - 0
    .max_flat_workgroup_size: 1024
    .name:           _ZN5aiter22opus_moe_sorting_entryINS_32MoeSortingMultiPhaseKernel_P0_v1INS_19MoeSortingProblemMpIifhLi1ELb1ELb1ELb1EEEEENS4_5KargsEEEvT0_
    .private_segment_fixed_size: 0
    .sgpr_count:     22
    .sgpr_spill_count: 0
    .symbol:         _ZN5aiter22opus_moe_sorting_entryINS_32MoeSortingMultiPhaseKernel_P0_v1INS_19MoeSortingProblemMpIifhLi1ELb1ELb1ELb1EEEEENS4_5KargsEEEvT0_.kd
    .uniform_work_group_size: 1
    .uses_dynamic_stack: false
    .vgpr_count:     7
    .vgpr_spill_count: 0
    .wavefront_size: 64
  - .agpr_count:     0
    .args:
      - .offset:         0
        .size:           48
        .value_kind:     by_value
      - .offset:         48
        .size:           4
        .value_kind:     hidden_block_count_x
      - .offset:         52
        .size:           4
        .value_kind:     hidden_block_count_y
      - .offset:         56
        .size:           4
        .value_kind:     hidden_block_count_z
      - .offset:         60
        .size:           2
        .value_kind:     hidden_group_size_x
      - .offset:         62
        .size:           2
        .value_kind:     hidden_group_size_y
      - .offset:         64
        .size:           2
        .value_kind:     hidden_group_size_z
      - .offset:         66
        .size:           2
        .value_kind:     hidden_remainder_x
      - .offset:         68
        .size:           2
        .value_kind:     hidden_remainder_y
      - .offset:         70
        .size:           2
        .value_kind:     hidden_remainder_z
      - .offset:         88
        .size:           8
        .value_kind:     hidden_global_offset_x
      - .offset:         96
        .size:           8
        .value_kind:     hidden_global_offset_y
      - .offset:         104
        .size:           8
        .value_kind:     hidden_global_offset_z
      - .offset:         112
        .size:           2
        .value_kind:     hidden_grid_dims
    .group_segment_fixed_size: 0
    .kernarg_segment_align: 8
    .kernarg_segment_size: 304
    .language:       OpenCL C
    .language_version:
      - 2
      - 0
    .max_flat_workgroup_size: 1024
    .name:           _ZN5aiter22opus_moe_sorting_entryINS_32MoeSortingMultiPhaseKernel_P0_v1INS_19MoeSortingProblemMpIifhLi1ELb1ELb0ELb1EEEEENS4_5KargsEEEvT0_
    .private_segment_fixed_size: 0
    .sgpr_count:     22
    .sgpr_spill_count: 0
    .symbol:         _ZN5aiter22opus_moe_sorting_entryINS_32MoeSortingMultiPhaseKernel_P0_v1INS_19MoeSortingProblemMpIifhLi1ELb1ELb0ELb1EEEEENS4_5KargsEEEvT0_.kd
    .uniform_work_group_size: 1
    .uses_dynamic_stack: false
    .vgpr_count:     8
    .vgpr_spill_count: 0
    .wavefront_size: 64
  - .agpr_count:     0
    .args:
      - .offset:         0
        .size:           48
        .value_kind:     by_value
      - .offset:         48
        .size:           4
        .value_kind:     hidden_block_count_x
      - .offset:         52
        .size:           4
        .value_kind:     hidden_block_count_y
      - .offset:         56
        .size:           4
        .value_kind:     hidden_block_count_z
      - .offset:         60
        .size:           2
        .value_kind:     hidden_group_size_x
      - .offset:         62
        .size:           2
        .value_kind:     hidden_group_size_y
      - .offset:         64
        .size:           2
        .value_kind:     hidden_group_size_z
      - .offset:         66
        .size:           2
        .value_kind:     hidden_remainder_x
      - .offset:         68
        .size:           2
        .value_kind:     hidden_remainder_y
      - .offset:         70
        .size:           2
        .value_kind:     hidden_remainder_z
      - .offset:         88
        .size:           8
        .value_kind:     hidden_global_offset_x
      - .offset:         96
        .size:           8
        .value_kind:     hidden_global_offset_y
      - .offset:         104
        .size:           8
        .value_kind:     hidden_global_offset_z
      - .offset:         112
        .size:           2
        .value_kind:     hidden_grid_dims
    .group_segment_fixed_size: 0
    .kernarg_segment_align: 8
    .kernarg_segment_size: 304
    .language:       OpenCL C
    .language_version:
      - 2
      - 0
    .max_flat_workgroup_size: 1024
    .name:           _ZN5aiter22opus_moe_sorting_entryINS_32MoeSortingMultiPhaseKernel_P0_v1INS_19MoeSortingProblemMpIifhLi1ELb0ELb1ELb1EEEEENS4_5KargsEEEvT0_
    .private_segment_fixed_size: 0
    .sgpr_count:     22
    .sgpr_spill_count: 0
    .symbol:         _ZN5aiter22opus_moe_sorting_entryINS_32MoeSortingMultiPhaseKernel_P0_v1INS_19MoeSortingProblemMpIifhLi1ELb0ELb1ELb1EEEEENS4_5KargsEEEvT0_.kd
    .uniform_work_group_size: 1
    .uses_dynamic_stack: false
    .vgpr_count:     7
    .vgpr_spill_count: 0
    .wavefront_size: 64
  - .agpr_count:     0
    .args:
      - .offset:         0
        .size:           48
        .value_kind:     by_value
      - .offset:         48
        .size:           4
        .value_kind:     hidden_block_count_x
      - .offset:         52
        .size:           4
        .value_kind:     hidden_block_count_y
      - .offset:         56
        .size:           4
        .value_kind:     hidden_block_count_z
      - .offset:         60
        .size:           2
        .value_kind:     hidden_group_size_x
      - .offset:         62
        .size:           2
        .value_kind:     hidden_group_size_y
      - .offset:         64
        .size:           2
        .value_kind:     hidden_group_size_z
      - .offset:         66
        .size:           2
        .value_kind:     hidden_remainder_x
      - .offset:         68
        .size:           2
        .value_kind:     hidden_remainder_y
      - .offset:         70
        .size:           2
        .value_kind:     hidden_remainder_z
      - .offset:         88
        .size:           8
        .value_kind:     hidden_global_offset_x
      - .offset:         96
        .size:           8
        .value_kind:     hidden_global_offset_y
      - .offset:         104
        .size:           8
        .value_kind:     hidden_global_offset_z
      - .offset:         112
        .size:           2
        .value_kind:     hidden_grid_dims
    .group_segment_fixed_size: 0
    .kernarg_segment_align: 8
    .kernarg_segment_size: 304
    .language:       OpenCL C
    .language_version:
      - 2
      - 0
    .max_flat_workgroup_size: 1024
    .name:           _ZN5aiter22opus_moe_sorting_entryINS_32MoeSortingMultiPhaseKernel_P0_v1INS_19MoeSortingProblemMpIifhLi1ELb0ELb0ELb1EEEEENS4_5KargsEEEvT0_
    .private_segment_fixed_size: 0
    .sgpr_count:     22
    .sgpr_spill_count: 0
    .symbol:         _ZN5aiter22opus_moe_sorting_entryINS_32MoeSortingMultiPhaseKernel_P0_v1INS_19MoeSortingProblemMpIifhLi1ELb0ELb0ELb1EEEEENS4_5KargsEEEvT0_.kd
    .uniform_work_group_size: 1
    .uses_dynamic_stack: false
    .vgpr_count:     8
    .vgpr_spill_count: 0
    .wavefront_size: 64
  - .agpr_count:     0
    .args:
      - .offset:         0
        .size:           48
        .value_kind:     by_value
      - .offset:         48
        .size:           4
        .value_kind:     hidden_block_count_x
      - .offset:         52
        .size:           4
        .value_kind:     hidden_block_count_y
      - .offset:         56
        .size:           4
        .value_kind:     hidden_block_count_z
      - .offset:         60
        .size:           2
        .value_kind:     hidden_group_size_x
      - .offset:         62
        .size:           2
        .value_kind:     hidden_group_size_y
      - .offset:         64
        .size:           2
        .value_kind:     hidden_group_size_z
      - .offset:         66
        .size:           2
        .value_kind:     hidden_remainder_x
      - .offset:         68
        .size:           2
        .value_kind:     hidden_remainder_y
      - .offset:         70
        .size:           2
        .value_kind:     hidden_remainder_z
      - .offset:         88
        .size:           8
        .value_kind:     hidden_global_offset_x
      - .offset:         96
        .size:           8
        .value_kind:     hidden_global_offset_y
      - .offset:         104
        .size:           8
        .value_kind:     hidden_global_offset_z
      - .offset:         112
        .size:           2
        .value_kind:     hidden_grid_dims
    .group_segment_fixed_size: 0
    .kernarg_segment_align: 8
    .kernarg_segment_size: 304
    .language:       OpenCL C
    .language_version:
      - 2
      - 0
    .max_flat_workgroup_size: 1024
    .name:           _ZN5aiter22opus_moe_sorting_entryINS_32MoeSortingMultiPhaseKernel_P0_v1INS_19MoeSortingProblemMpIifiLi1ELb1ELb1ELb1EEEEENS4_5KargsEEEvT0_
    .private_segment_fixed_size: 0
    .sgpr_count:     22
    .sgpr_spill_count: 0
    .symbol:         _ZN5aiter22opus_moe_sorting_entryINS_32MoeSortingMultiPhaseKernel_P0_v1INS_19MoeSortingProblemMpIifiLi1ELb1ELb1ELb1EEEEENS4_5KargsEEEvT0_.kd
    .uniform_work_group_size: 1
    .uses_dynamic_stack: false
    .vgpr_count:     8
    .vgpr_spill_count: 0
    .wavefront_size: 64
  - .agpr_count:     0
    .args:
      - .offset:         0
        .size:           40
        .value_kind:     by_value
    .group_segment_fixed_size: 16
    .kernarg_segment_align: 8
    .kernarg_segment_size: 40
    .language:       OpenCL C
    .language_version:
      - 2
      - 0
    .max_flat_workgroup_size: 1024
    .name:           _ZN5aiter22opus_moe_sorting_entryINS_29MoeSortingMultiPhaseKernel_P1INS_19MoeSortingProblemMpIifiLi1ELb1ELb1ELb1EEEEENS4_5KargsEEEvT0_
    .private_segment_fixed_size: 0
    .sgpr_count:     20
    .sgpr_spill_count: 0
    .symbol:         _ZN5aiter22opus_moe_sorting_entryINS_29MoeSortingMultiPhaseKernel_P1INS_19MoeSortingProblemMpIifiLi1ELb1ELb1ELb1EEEEENS4_5KargsEEEvT0_.kd
    .uniform_work_group_size: 1
    .uses_dynamic_stack: false
    .vgpr_count:     12
    .vgpr_spill_count: 0
    .wavefront_size: 64
  - .agpr_count:     0
    .args:
      - .offset:         0
        .size:           48
        .value_kind:     by_value
      - .offset:         48
        .size:           4
        .value_kind:     hidden_block_count_x
      - .offset:         52
        .size:           4
        .value_kind:     hidden_block_count_y
      - .offset:         56
        .size:           4
        .value_kind:     hidden_block_count_z
      - .offset:         60
        .size:           2
        .value_kind:     hidden_group_size_x
      - .offset:         62
        .size:           2
        .value_kind:     hidden_group_size_y
      - .offset:         64
        .size:           2
        .value_kind:     hidden_group_size_z
      - .offset:         66
        .size:           2
        .value_kind:     hidden_remainder_x
      - .offset:         68
        .size:           2
        .value_kind:     hidden_remainder_y
      - .offset:         70
        .size:           2
        .value_kind:     hidden_remainder_z
      - .offset:         88
        .size:           8
        .value_kind:     hidden_global_offset_x
      - .offset:         96
        .size:           8
        .value_kind:     hidden_global_offset_y
      - .offset:         104
        .size:           8
        .value_kind:     hidden_global_offset_z
      - .offset:         112
        .size:           2
        .value_kind:     hidden_grid_dims
    .group_segment_fixed_size: 0
    .kernarg_segment_align: 8
    .kernarg_segment_size: 304
    .language:       OpenCL C
    .language_version:
      - 2
      - 0
    .max_flat_workgroup_size: 1024
    .name:           _ZN5aiter22opus_moe_sorting_entryINS_32MoeSortingMultiPhaseKernel_P0_v1INS_19MoeSortingProblemMpIifiLi1ELb1ELb0ELb1EEEEENS4_5KargsEEEvT0_
    .private_segment_fixed_size: 0
    .sgpr_count:     22
    .sgpr_spill_count: 0
    .symbol:         _ZN5aiter22opus_moe_sorting_entryINS_32MoeSortingMultiPhaseKernel_P0_v1INS_19MoeSortingProblemMpIifiLi1ELb1ELb0ELb1EEEEENS4_5KargsEEEvT0_.kd
    .uniform_work_group_size: 1
    .uses_dynamic_stack: false
    .vgpr_count:     7
    .vgpr_spill_count: 0
    .wavefront_size: 64
  - .agpr_count:     0
    .args:
      - .offset:         0
        .size:           40
        .value_kind:     by_value
    .group_segment_fixed_size: 16
    .kernarg_segment_align: 8
    .kernarg_segment_size: 40
    .language:       OpenCL C
    .language_version:
      - 2
      - 0
    .max_flat_workgroup_size: 1024
    .name:           _ZN5aiter22opus_moe_sorting_entryINS_29MoeSortingMultiPhaseKernel_P1INS_19MoeSortingProblemMpIifiLi1ELb1ELb0ELb1EEEEENS4_5KargsEEEvT0_
    .private_segment_fixed_size: 0
    .sgpr_count:     14
    .sgpr_spill_count: 0
    .symbol:         _ZN5aiter22opus_moe_sorting_entryINS_29MoeSortingMultiPhaseKernel_P1INS_19MoeSortingProblemMpIifiLi1ELb1ELb0ELb1EEEEENS4_5KargsEEEvT0_.kd
    .uniform_work_group_size: 1
    .uses_dynamic_stack: false
    .vgpr_count:     12
    .vgpr_spill_count: 0
    .wavefront_size: 64
  - .agpr_count:     0
    .args:
      - .offset:         0
        .size:           48
        .value_kind:     by_value
      - .offset:         48
        .size:           4
        .value_kind:     hidden_block_count_x
      - .offset:         52
        .size:           4
        .value_kind:     hidden_block_count_y
      - .offset:         56
        .size:           4
        .value_kind:     hidden_block_count_z
      - .offset:         60
        .size:           2
        .value_kind:     hidden_group_size_x
      - .offset:         62
        .size:           2
        .value_kind:     hidden_group_size_y
      - .offset:         64
        .size:           2
        .value_kind:     hidden_group_size_z
      - .offset:         66
        .size:           2
        .value_kind:     hidden_remainder_x
      - .offset:         68
        .size:           2
        .value_kind:     hidden_remainder_y
      - .offset:         70
        .size:           2
        .value_kind:     hidden_remainder_z
      - .offset:         88
        .size:           8
        .value_kind:     hidden_global_offset_x
      - .offset:         96
        .size:           8
        .value_kind:     hidden_global_offset_y
      - .offset:         104
        .size:           8
        .value_kind:     hidden_global_offset_z
      - .offset:         112
        .size:           2
        .value_kind:     hidden_grid_dims
    .group_segment_fixed_size: 0
    .kernarg_segment_align: 8
    .kernarg_segment_size: 304
    .language:       OpenCL C
    .language_version:
      - 2
      - 0
    .max_flat_workgroup_size: 1024
    .name:           _ZN5aiter22opus_moe_sorting_entryINS_32MoeSortingMultiPhaseKernel_P0_v1INS_19MoeSortingProblemMpIifiLi1ELb0ELb1ELb1EEEEENS4_5KargsEEEvT0_
    .private_segment_fixed_size: 0
    .sgpr_count:     22
    .sgpr_spill_count: 0
    .symbol:         _ZN5aiter22opus_moe_sorting_entryINS_32MoeSortingMultiPhaseKernel_P0_v1INS_19MoeSortingProblemMpIifiLi1ELb0ELb1ELb1EEEEENS4_5KargsEEEvT0_.kd
    .uniform_work_group_size: 1
    .uses_dynamic_stack: false
    .vgpr_count:     8
    .vgpr_spill_count: 0
    .wavefront_size: 64
  - .agpr_count:     0
    .args:
      - .offset:         0
        .size:           40
        .value_kind:     by_value
    .group_segment_fixed_size: 16
    .kernarg_segment_align: 8
    .kernarg_segment_size: 40
    .language:       OpenCL C
    .language_version:
      - 2
      - 0
    .max_flat_workgroup_size: 1024
    .name:           _ZN5aiter22opus_moe_sorting_entryINS_29MoeSortingMultiPhaseKernel_P1INS_19MoeSortingProblemMpIifiLi1ELb0ELb1ELb1EEEEENS4_5KargsEEEvT0_
    .private_segment_fixed_size: 0
    .sgpr_count:     14
    .sgpr_spill_count: 0
    .symbol:         _ZN5aiter22opus_moe_sorting_entryINS_29MoeSortingMultiPhaseKernel_P1INS_19MoeSortingProblemMpIifiLi1ELb0ELb1ELb1EEEEENS4_5KargsEEEvT0_.kd
    .uniform_work_group_size: 1
    .uses_dynamic_stack: false
    .vgpr_count:     12
    .vgpr_spill_count: 0
    .wavefront_size: 64
  - .agpr_count:     0
    .args:
      - .offset:         0
        .size:           48
        .value_kind:     by_value
      - .offset:         48
        .size:           4
        .value_kind:     hidden_block_count_x
      - .offset:         52
        .size:           4
        .value_kind:     hidden_block_count_y
      - .offset:         56
        .size:           4
        .value_kind:     hidden_block_count_z
      - .offset:         60
        .size:           2
        .value_kind:     hidden_group_size_x
      - .offset:         62
        .size:           2
        .value_kind:     hidden_group_size_y
      - .offset:         64
        .size:           2
        .value_kind:     hidden_group_size_z
      - .offset:         66
        .size:           2
        .value_kind:     hidden_remainder_x
      - .offset:         68
        .size:           2
        .value_kind:     hidden_remainder_y
      - .offset:         70
        .size:           2
        .value_kind:     hidden_remainder_z
      - .offset:         88
        .size:           8
        .value_kind:     hidden_global_offset_x
      - .offset:         96
        .size:           8
        .value_kind:     hidden_global_offset_y
      - .offset:         104
        .size:           8
        .value_kind:     hidden_global_offset_z
      - .offset:         112
        .size:           2
        .value_kind:     hidden_grid_dims
    .group_segment_fixed_size: 0
    .kernarg_segment_align: 8
    .kernarg_segment_size: 304
    .language:       OpenCL C
    .language_version:
      - 2
      - 0
    .max_flat_workgroup_size: 1024
    .name:           _ZN5aiter22opus_moe_sorting_entryINS_32MoeSortingMultiPhaseKernel_P0_v1INS_19MoeSortingProblemMpIifiLi1ELb0ELb0ELb1EEEEENS4_5KargsEEEvT0_
    .private_segment_fixed_size: 0
    .sgpr_count:     22
    .sgpr_spill_count: 0
    .symbol:         _ZN5aiter22opus_moe_sorting_entryINS_32MoeSortingMultiPhaseKernel_P0_v1INS_19MoeSortingProblemMpIifiLi1ELb0ELb0ELb1EEEEENS4_5KargsEEEvT0_.kd
    .uniform_work_group_size: 1
    .uses_dynamic_stack: false
    .vgpr_count:     7
    .vgpr_spill_count: 0
    .wavefront_size: 64
  - .agpr_count:     0
    .args:
      - .offset:         0
        .size:           40
        .value_kind:     by_value
    .group_segment_fixed_size: 16
    .kernarg_segment_align: 8
    .kernarg_segment_size: 40
    .language:       OpenCL C
    .language_version:
      - 2
      - 0
    .max_flat_workgroup_size: 1024
    .name:           _ZN5aiter22opus_moe_sorting_entryINS_29MoeSortingMultiPhaseKernel_P1INS_19MoeSortingProblemMpIifiLi1ELb0ELb0ELb1EEEEENS4_5KargsEEEvT0_
    .private_segment_fixed_size: 0
    .sgpr_count:     15
    .sgpr_spill_count: 0
    .symbol:         _ZN5aiter22opus_moe_sorting_entryINS_29MoeSortingMultiPhaseKernel_P1INS_19MoeSortingProblemMpIifiLi1ELb0ELb0ELb1EEEEENS4_5KargsEEEvT0_.kd
    .uniform_work_group_size: 1
    .uses_dynamic_stack: false
    .vgpr_count:     12
    .vgpr_spill_count: 0
    .wavefront_size: 64
amdhsa.target:   amdgcn-amd-amdhsa--gfx90a
amdhsa.version:
  - 1
  - 2
...

	.end_amdgpu_metadata
